;; amdgpu-corpus repo=ROCm/rocFFT kind=compiled arch=gfx906 opt=O3
	.text
	.amdgcn_target "amdgcn-amd-amdhsa--gfx906"
	.amdhsa_code_object_version 6
	.protected	fft_rtc_fwd_len4050_factors_10_5_3_3_3_3_wgs_135_tpt_135_halfLds_dp_ip_CI_unitstride_sbrr_R2C_dirReg ; -- Begin function fft_rtc_fwd_len4050_factors_10_5_3_3_3_3_wgs_135_tpt_135_halfLds_dp_ip_CI_unitstride_sbrr_R2C_dirReg
	.globl	fft_rtc_fwd_len4050_factors_10_5_3_3_3_3_wgs_135_tpt_135_halfLds_dp_ip_CI_unitstride_sbrr_R2C_dirReg
	.p2align	8
	.type	fft_rtc_fwd_len4050_factors_10_5_3_3_3_3_wgs_135_tpt_135_halfLds_dp_ip_CI_unitstride_sbrr_R2C_dirReg,@function
fft_rtc_fwd_len4050_factors_10_5_3_3_3_3_wgs_135_tpt_135_halfLds_dp_ip_CI_unitstride_sbrr_R2C_dirReg: ; @fft_rtc_fwd_len4050_factors_10_5_3_3_3_3_wgs_135_tpt_135_halfLds_dp_ip_CI_unitstride_sbrr_R2C_dirReg
; %bb.0:
	s_load_dwordx2 s[2:3], s[4:5], 0x50
	s_load_dwordx4 s[8:11], s[4:5], 0x0
	s_load_dwordx2 s[12:13], s[4:5], 0x18
	v_mul_u32_u24_e32 v1, 0x1e6, v0
	v_add_u32_sdwa v5, s6, v1 dst_sel:DWORD dst_unused:UNUSED_PAD src0_sel:DWORD src1_sel:WORD_1
	v_mov_b32_e32 v3, 0
	s_waitcnt lgkmcnt(0)
	v_cmp_lt_u64_e64 s[0:1], s[10:11], 2
	v_mov_b32_e32 v1, 0
	v_mov_b32_e32 v6, v3
	s_and_b64 vcc, exec, s[0:1]
	v_mov_b32_e32 v2, 0
	s_cbranch_vccnz .LBB0_8
; %bb.1:
	s_load_dwordx2 s[0:1], s[4:5], 0x10
	s_add_u32 s6, s12, 8
	s_addc_u32 s7, s13, 0
	v_mov_b32_e32 v1, 0
	v_mov_b32_e32 v2, 0
	s_waitcnt lgkmcnt(0)
	s_add_u32 s14, s0, 8
	s_addc_u32 s15, s1, 0
	s_mov_b64 s[16:17], 1
.LBB0_2:                                ; =>This Inner Loop Header: Depth=1
	s_load_dwordx2 s[18:19], s[14:15], 0x0
                                        ; implicit-def: $vgpr7_vgpr8
	s_waitcnt lgkmcnt(0)
	v_or_b32_e32 v4, s19, v6
	v_cmp_ne_u64_e32 vcc, 0, v[3:4]
	s_and_saveexec_b64 s[0:1], vcc
	s_xor_b64 s[20:21], exec, s[0:1]
	s_cbranch_execz .LBB0_4
; %bb.3:                                ;   in Loop: Header=BB0_2 Depth=1
	v_cvt_f32_u32_e32 v4, s18
	v_cvt_f32_u32_e32 v7, s19
	s_sub_u32 s0, 0, s18
	s_subb_u32 s1, 0, s19
	v_mac_f32_e32 v4, 0x4f800000, v7
	v_rcp_f32_e32 v4, v4
	v_mul_f32_e32 v4, 0x5f7ffffc, v4
	v_mul_f32_e32 v7, 0x2f800000, v4
	v_trunc_f32_e32 v7, v7
	v_mac_f32_e32 v4, 0xcf800000, v7
	v_cvt_u32_f32_e32 v7, v7
	v_cvt_u32_f32_e32 v4, v4
	v_mul_lo_u32 v8, s0, v7
	v_mul_hi_u32 v9, s0, v4
	v_mul_lo_u32 v11, s1, v4
	v_mul_lo_u32 v10, s0, v4
	v_add_u32_e32 v8, v9, v8
	v_add_u32_e32 v8, v8, v11
	v_mul_hi_u32 v9, v4, v10
	v_mul_lo_u32 v11, v4, v8
	v_mul_hi_u32 v13, v4, v8
	v_mul_hi_u32 v12, v7, v10
	v_mul_lo_u32 v10, v7, v10
	v_mul_hi_u32 v14, v7, v8
	v_add_co_u32_e32 v9, vcc, v9, v11
	v_addc_co_u32_e32 v11, vcc, 0, v13, vcc
	v_mul_lo_u32 v8, v7, v8
	v_add_co_u32_e32 v9, vcc, v9, v10
	v_addc_co_u32_e32 v9, vcc, v11, v12, vcc
	v_addc_co_u32_e32 v10, vcc, 0, v14, vcc
	v_add_co_u32_e32 v8, vcc, v9, v8
	v_addc_co_u32_e32 v9, vcc, 0, v10, vcc
	v_add_co_u32_e32 v4, vcc, v4, v8
	v_addc_co_u32_e32 v7, vcc, v7, v9, vcc
	v_mul_lo_u32 v8, s0, v7
	v_mul_hi_u32 v9, s0, v4
	v_mul_lo_u32 v10, s1, v4
	v_mul_lo_u32 v11, s0, v4
	v_add_u32_e32 v8, v9, v8
	v_add_u32_e32 v8, v8, v10
	v_mul_lo_u32 v12, v4, v8
	v_mul_hi_u32 v13, v4, v11
	v_mul_hi_u32 v14, v4, v8
	;; [unrolled: 1-line block ×3, first 2 shown]
	v_mul_lo_u32 v11, v7, v11
	v_mul_hi_u32 v9, v7, v8
	v_add_co_u32_e32 v12, vcc, v13, v12
	v_addc_co_u32_e32 v13, vcc, 0, v14, vcc
	v_mul_lo_u32 v8, v7, v8
	v_add_co_u32_e32 v11, vcc, v12, v11
	v_addc_co_u32_e32 v10, vcc, v13, v10, vcc
	v_addc_co_u32_e32 v9, vcc, 0, v9, vcc
	v_add_co_u32_e32 v8, vcc, v10, v8
	v_addc_co_u32_e32 v9, vcc, 0, v9, vcc
	v_add_co_u32_e32 v4, vcc, v4, v8
	v_addc_co_u32_e32 v9, vcc, v7, v9, vcc
	v_mad_u64_u32 v[7:8], s[0:1], v5, v9, 0
	v_mul_hi_u32 v10, v5, v4
	v_add_co_u32_e32 v11, vcc, v10, v7
	v_addc_co_u32_e32 v12, vcc, 0, v8, vcc
	v_mad_u64_u32 v[7:8], s[0:1], v6, v4, 0
	v_mad_u64_u32 v[9:10], s[0:1], v6, v9, 0
	v_add_co_u32_e32 v4, vcc, v11, v7
	v_addc_co_u32_e32 v4, vcc, v12, v8, vcc
	v_addc_co_u32_e32 v7, vcc, 0, v10, vcc
	v_add_co_u32_e32 v4, vcc, v4, v9
	v_addc_co_u32_e32 v9, vcc, 0, v7, vcc
	v_mul_lo_u32 v10, s19, v4
	v_mul_lo_u32 v11, s18, v9
	v_mad_u64_u32 v[7:8], s[0:1], s18, v4, 0
	v_add3_u32 v8, v8, v11, v10
	v_sub_u32_e32 v10, v6, v8
	v_mov_b32_e32 v11, s19
	v_sub_co_u32_e32 v7, vcc, v5, v7
	v_subb_co_u32_e64 v10, s[0:1], v10, v11, vcc
	v_subrev_co_u32_e64 v11, s[0:1], s18, v7
	v_subbrev_co_u32_e64 v10, s[0:1], 0, v10, s[0:1]
	v_cmp_le_u32_e64 s[0:1], s19, v10
	v_cndmask_b32_e64 v12, 0, -1, s[0:1]
	v_cmp_le_u32_e64 s[0:1], s18, v11
	v_cndmask_b32_e64 v11, 0, -1, s[0:1]
	v_cmp_eq_u32_e64 s[0:1], s19, v10
	v_cndmask_b32_e64 v10, v12, v11, s[0:1]
	v_add_co_u32_e64 v11, s[0:1], 2, v4
	v_addc_co_u32_e64 v12, s[0:1], 0, v9, s[0:1]
	v_add_co_u32_e64 v13, s[0:1], 1, v4
	v_addc_co_u32_e64 v14, s[0:1], 0, v9, s[0:1]
	v_subb_co_u32_e32 v8, vcc, v6, v8, vcc
	v_cmp_ne_u32_e64 s[0:1], 0, v10
	v_cmp_le_u32_e32 vcc, s19, v8
	v_cndmask_b32_e64 v10, v14, v12, s[0:1]
	v_cndmask_b32_e64 v12, 0, -1, vcc
	v_cmp_le_u32_e32 vcc, s18, v7
	v_cndmask_b32_e64 v7, 0, -1, vcc
	v_cmp_eq_u32_e32 vcc, s19, v8
	v_cndmask_b32_e32 v7, v12, v7, vcc
	v_cmp_ne_u32_e32 vcc, 0, v7
	v_cndmask_b32_e64 v7, v13, v11, s[0:1]
	v_cndmask_b32_e32 v8, v9, v10, vcc
	v_cndmask_b32_e32 v7, v4, v7, vcc
.LBB0_4:                                ;   in Loop: Header=BB0_2 Depth=1
	s_andn2_saveexec_b64 s[0:1], s[20:21]
	s_cbranch_execz .LBB0_6
; %bb.5:                                ;   in Loop: Header=BB0_2 Depth=1
	v_cvt_f32_u32_e32 v4, s18
	s_sub_i32 s20, 0, s18
	v_rcp_iflag_f32_e32 v4, v4
	v_mul_f32_e32 v4, 0x4f7ffffe, v4
	v_cvt_u32_f32_e32 v4, v4
	v_mul_lo_u32 v7, s20, v4
	v_mul_hi_u32 v7, v4, v7
	v_add_u32_e32 v4, v4, v7
	v_mul_hi_u32 v4, v5, v4
	v_mul_lo_u32 v7, v4, s18
	v_add_u32_e32 v8, 1, v4
	v_sub_u32_e32 v7, v5, v7
	v_subrev_u32_e32 v9, s18, v7
	v_cmp_le_u32_e32 vcc, s18, v7
	v_cndmask_b32_e32 v7, v7, v9, vcc
	v_cndmask_b32_e32 v4, v4, v8, vcc
	v_add_u32_e32 v8, 1, v4
	v_cmp_le_u32_e32 vcc, s18, v7
	v_cndmask_b32_e32 v7, v4, v8, vcc
	v_mov_b32_e32 v8, v3
.LBB0_6:                                ;   in Loop: Header=BB0_2 Depth=1
	s_or_b64 exec, exec, s[0:1]
	v_mul_lo_u32 v4, v8, s18
	v_mul_lo_u32 v11, v7, s19
	v_mad_u64_u32 v[9:10], s[0:1], v7, s18, 0
	s_load_dwordx2 s[0:1], s[6:7], 0x0
	s_add_u32 s16, s16, 1
	v_add3_u32 v4, v10, v11, v4
	v_sub_co_u32_e32 v5, vcc, v5, v9
	v_subb_co_u32_e32 v4, vcc, v6, v4, vcc
	s_waitcnt lgkmcnt(0)
	v_mul_lo_u32 v4, s0, v4
	v_mul_lo_u32 v6, s1, v5
	v_mad_u64_u32 v[1:2], s[0:1], s0, v5, v[1:2]
	s_addc_u32 s17, s17, 0
	s_add_u32 s6, s6, 8
	v_add3_u32 v2, v6, v2, v4
	v_mov_b32_e32 v4, s10
	v_mov_b32_e32 v5, s11
	s_addc_u32 s7, s7, 0
	v_cmp_ge_u64_e32 vcc, s[16:17], v[4:5]
	s_add_u32 s14, s14, 8
	s_addc_u32 s15, s15, 0
	s_cbranch_vccnz .LBB0_9
; %bb.7:                                ;   in Loop: Header=BB0_2 Depth=1
	v_mov_b32_e32 v5, v7
	v_mov_b32_e32 v6, v8
	s_branch .LBB0_2
.LBB0_8:
	v_mov_b32_e32 v8, v6
	v_mov_b32_e32 v7, v5
.LBB0_9:
	s_lshl_b64 s[0:1], s[10:11], 3
	s_add_u32 s0, s12, s0
	s_addc_u32 s1, s13, s1
	s_load_dwordx2 s[6:7], s[0:1], 0x0
	s_load_dwordx2 s[10:11], s[4:5], 0x20
                                        ; implicit-def: $vgpr88
                                        ; implicit-def: $vgpr97
                                        ; implicit-def: $vgpr93
                                        ; implicit-def: $vgpr96
                                        ; implicit-def: $vgpr95
                                        ; implicit-def: $vgpr94
                                        ; implicit-def: $vgpr92
                                        ; implicit-def: $vgpr91
                                        ; implicit-def: $vgpr90
	s_waitcnt lgkmcnt(0)
	v_mad_u64_u32 v[1:2], s[0:1], s6, v7, v[1:2]
	s_mov_b32 s0, 0x1e573ad
	v_mul_lo_u32 v3, s6, v8
	v_mul_lo_u32 v4, s7, v7
	v_mul_hi_u32 v5, v0, s0
	v_cmp_gt_u64_e64 s[0:1], s[10:11], v[7:8]
	v_cmp_le_u64_e32 vcc, s[10:11], v[7:8]
	v_add3_u32 v2, v4, v2, v3
	v_mul_u32_u24_e32 v3, 0x87, v5
	v_sub_u32_e32 v84, v0, v3
	s_and_saveexec_b64 s[4:5], vcc
	s_xor_b64 s[4:5], exec, s[4:5]
; %bb.10:
	v_add_u32_e32 v88, 0x87, v84
	v_add_u32_e32 v97, 0x10e, v84
	;; [unrolled: 1-line block ×9, first 2 shown]
; %bb.11:
	s_or_saveexec_b64 s[4:5], s[4:5]
	v_lshlrev_b64 v[86:87], 4, v[1:2]
	s_xor_b64 exec, exec, s[4:5]
	s_cbranch_execz .LBB0_13
; %bb.12:
	v_mov_b32_e32 v85, 0
	v_mov_b32_e32 v0, s3
	v_add_co_u32_e32 v2, vcc, s2, v86
	v_addc_co_u32_e32 v3, vcc, v0, v87, vcc
	v_lshlrev_b64 v[0:1], 4, v[84:85]
	s_movk_i32 s6, 0x1000
	v_add_co_u32_e32 v120, vcc, v2, v0
	v_addc_co_u32_e32 v121, vcc, v3, v1, vcc
	v_add_co_u32_e32 v16, vcc, s6, v120
	v_addc_co_u32_e32 v17, vcc, 0, v121, vcc
	s_movk_i32 s6, 0x2000
	v_add_co_u32_e32 v24, vcc, s6, v120
	v_addc_co_u32_e32 v25, vcc, 0, v121, vcc
	s_movk_i32 s6, 0x3000
	;; [unrolled: 3-line block ×6, first 2 shown]
	v_add_co_u32_e32 v72, vcc, s6, v120
	v_addc_co_u32_e32 v73, vcc, 0, v121, vcc
	s_mov_b32 s6, 0x8000
	v_add_co_u32_e32 v74, vcc, s6, v120
	v_addc_co_u32_e32 v75, vcc, 0, v121, vcc
	s_mov_b32 s6, 0x9000
	;; [unrolled: 3-line block ×6, first 2 shown]
	v_add_co_u32_e32 v122, vcc, s6, v120
	v_addc_co_u32_e32 v123, vcc, 0, v121, vcc
	v_add_co_u32_e32 v124, vcc, 0xe000, v120
	v_addc_co_u32_e32 v125, vcc, 0, v121, vcc
	global_load_dwordx4 v[0:3], v[120:121], off
	global_load_dwordx4 v[4:7], v[120:121], off offset:2160
	v_add_co_u32_e32 v120, vcc, 0xf000, v120
	global_load_dwordx4 v[8:11], v[16:17], off offset:224
	global_load_dwordx4 v[12:15], v[16:17], off offset:2384
	s_nop 0
	global_load_dwordx4 v[16:19], v[24:25], off offset:448
	global_load_dwordx4 v[20:23], v[24:25], off offset:2608
	s_nop 0
	;; [unrolled: 3-line block ×6, first 2 shown]
	global_load_dwordx4 v[56:59], v[72:73], off offset:1568
	global_load_dwordx4 v[60:63], v[72:73], off offset:3728
	;; [unrolled: 1-line block ×4, first 2 shown]
	s_nop 0
	global_load_dwordx4 v[72:75], v[80:81], off offset:2016
	global_load_dwordx4 v[76:79], v[92:93], off offset:80
	s_nop 0
	global_load_dwordx4 v[80:83], v[92:93], off offset:2240
	global_load_dwordx4 v[88:91], v[100:101], off offset:304
	;; [unrolled: 3-line block ×4, first 2 shown]
	v_addc_co_u32_e32 v121, vcc, 0, v121, vcc
	global_load_dwordx4 v[108:111], v[122:123], off offset:2912
	global_load_dwordx4 v[112:115], v[124:125], off offset:976
	global_load_dwordx4 v[116:119], v[124:125], off offset:3136
	v_lshl_add_u32 v85, v84, 4, 0
	global_load_dwordx4 v[120:123], v[120:121], off offset:1200
	s_waitcnt vmcnt(29)
	ds_write_b128 v85, v[0:3]
	s_waitcnt vmcnt(28)
	ds_write_b128 v85, v[4:7] offset:2160
	s_waitcnt vmcnt(27)
	ds_write_b128 v85, v[8:11] offset:4320
	;; [unrolled: 2-line block ×26, first 2 shown]
	v_add_u32_e32 v88, 0x87, v84
	v_add_u32_e32 v97, 0x10e, v84
	;; [unrolled: 1-line block ×9, first 2 shown]
	s_waitcnt vmcnt(2)
	ds_write_b128 v85, v[112:115] offset:58320
	s_waitcnt vmcnt(1)
	ds_write_b128 v85, v[116:119] offset:60480
	;; [unrolled: 2-line block ×3, first 2 shown]
.LBB0_13:
	s_or_b64 exec, exec, s[4:5]
	v_lshlrev_b32_e32 v85, 4, v84
	v_add_u32_e32 v99, 0, v85
	s_waitcnt lgkmcnt(0)
	s_barrier
	ds_read_b128 v[4:7], v99 offset:12960
	ds_read_b128 v[32:35], v99
	ds_read_b128 v[0:3], v99 offset:2160
	ds_read_b128 v[8:11], v99 offset:15120
	;; [unrolled: 1-line block ×8, first 2 shown]
	s_waitcnt lgkmcnt(8)
	v_add_f64 v[22:23], v[34:35], v[6:7]
	v_add_f64 v[12:13], v[32:33], v[4:5]
	s_waitcnt lgkmcnt(4)
	v_add_f64 v[66:67], v[20:21], -v[16:17]
	v_add_f64 v[72:73], v[20:21], v[16:17]
	v_add_f64 v[74:75], v[6:7], -v[20:21]
	v_add_f64 v[78:79], v[20:21], -v[6:7]
	v_add_f64 v[64:65], v[18:19], v[14:15]
	v_add_f64 v[68:69], v[4:5], -v[18:19]
	v_add_f64 v[26:27], v[22:23], v[20:21]
	v_add_f64 v[12:13], v[12:13], v[18:19]
	ds_read_b128 v[22:25], v99 offset:51840
	ds_read_b128 v[56:59], v99 offset:54000
	v_add_f64 v[70:71], v[18:19], -v[4:5]
	v_add_f64 v[76:77], v[18:19], -v[14:15]
	s_waitcnt lgkmcnt(2)
	v_add_f64 v[60:61], v[42:43], v[38:39]
	s_waitcnt lgkmcnt(1)
	v_add_f64 v[108:109], v[6:7], -v[24:25]
	v_add_f64 v[20:21], v[26:27], v[16:17]
	v_add_f64 v[26:27], v[40:41], v[36:37]
	;; [unrolled: 1-line block ×3, first 2 shown]
	v_add_f64 v[110:111], v[4:5], -v[22:23]
	v_add_f64 v[82:83], v[6:7], v[24:25]
	v_add_f64 v[18:19], v[12:13], v[14:15]
	v_add_f64 v[100:101], v[22:23], -v[14:15]
	v_add_f64 v[112:113], v[14:15], -v[22:23]
	ds_read_b128 v[4:7], v99 offset:4320
	ds_read_b128 v[12:15], v99 offset:17280
	;; [unrolled: 1-line block ×4, first 2 shown]
	v_add_f64 v[106:107], v[20:21], v[24:25]
	s_mov_b32 s10, 0x134454ff
	s_mov_b32 s11, 0x3fee6f0e
	s_waitcnt lgkmcnt(1)
	v_add_f64 v[116:117], v[26:27], v[48:49]
	v_add_f64 v[118:119], v[60:61], v[50:51]
	s_waitcnt lgkmcnt(0)
	v_add_f64 v[120:121], v[48:49], v[52:53]
	v_add_f64 v[104:105], v[18:19], v[22:23]
	ds_read_b128 v[20:23], v99 offset:30240
	ds_read_b128 v[60:63], v99 offset:58320
	v_add_f64 v[124:125], v[36:37], -v[48:49]
	v_add_f64 v[126:127], v[48:49], -v[36:37]
	v_add_f64 v[116:117], v[116:117], v[52:53]
	v_add_f64 v[128:129], v[50:51], v[54:55]
	v_add_f64 v[48:49], v[48:49], -v[52:53]
	s_waitcnt lgkmcnt(0)
	v_add_f64 v[132:133], v[38:39], -v[62:63]
	v_add_f64 v[134:135], v[36:37], v[60:61]
	v_add_f64 v[118:119], v[118:119], v[54:55]
	v_add_f64 v[36:37], v[36:37], -v[60:61]
	v_add_f64 v[136:137], v[60:61], -v[52:53]
	v_add_f64 v[52:53], v[52:53], -v[60:61]
	v_add_f64 v[60:61], v[116:117], v[60:61]
	v_fma_f64 v[116:117], v[120:121], -0.5, v[40:41]
	v_add_f64 v[122:123], v[50:51], -v[54:55]
	v_add_f64 v[130:131], v[38:39], -v[50:51]
	;; [unrolled: 1-line block ×3, first 2 shown]
	v_add_f64 v[38:39], v[38:39], v[62:63]
	v_add_f64 v[138:139], v[62:63], -v[54:55]
	v_add_f64 v[54:55], v[54:55], -v[62:63]
	v_add_f64 v[62:63], v[118:119], v[62:63]
	v_fma_f64 v[118:119], v[128:129], -0.5, v[42:43]
	v_fma_f64 v[64:65], v[64:65], -0.5, v[32:33]
	;; [unrolled: 1-line block ×3, first 2 shown]
	v_fma_f64 v[80:81], v[132:133], s[10:11], v[116:117]
	s_mov_b32 s4, 0x4755a5e
	s_mov_b32 s15, 0xbfee6f0e
	;; [unrolled: 1-line block ×4, first 2 shown]
	v_fma_f64 v[120:121], v[36:37], s[14:15], v[118:119]
	v_add_f64 v[124:125], v[124:125], v[136:137]
	v_fma_f64 v[40:41], v[134:135], -0.5, v[40:41]
	v_fma_f64 v[80:81], v[122:123], s[4:5], v[80:81]
	s_mov_b32 s6, 0x372fe950
	s_mov_b32 s13, 0xbfe2cf23
	;; [unrolled: 1-line block ×4, first 2 shown]
	v_add_f64 v[102:103], v[24:25], -v[16:17]
	v_add_f64 v[128:129], v[130:131], v[138:139]
	v_fma_f64 v[120:121], v[48:49], s[12:13], v[120:121]
	v_fma_f64 v[38:39], v[38:39], -0.5, v[42:43]
	v_fma_f64 v[42:43], v[124:125], s[6:7], v[80:81]
	v_fma_f64 v[136:137], v[122:123], s[14:15], v[40:41]
	v_fma_f64 v[130:131], v[72:73], -0.5, v[34:35]
	s_mov_b32 s16, 0x9b97f4a8
	s_mov_b32 s17, 0x3fe9e377
	v_fma_f64 v[80:81], v[108:109], s[10:11], v[64:65]
	v_fma_f64 v[72:73], v[128:129], s[6:7], v[120:121]
	;; [unrolled: 1-line block ×3, first 2 shown]
	v_mul_f64 v[134:135], v[42:43], s[16:17]
	v_add_f64 v[138:139], v[74:75], v[102:103]
	v_add_f64 v[52:53], v[126:127], v[52:53]
	v_fma_f64 v[102:103], v[132:133], s[4:5], v[136:137]
	v_add_f64 v[68:69], v[68:69], v[100:101]
	v_fma_f64 v[100:101], v[110:111], s[14:15], v[130:131]
	v_fma_f64 v[74:75], v[66:67], s[4:5], v[80:81]
	v_add_f64 v[50:51], v[50:51], v[54:55]
	v_fma_f64 v[54:55], v[36:37], s[12:13], v[120:121]
	v_fma_f64 v[34:35], v[82:83], -0.5, v[34:35]
	v_fma_f64 v[82:83], v[72:73], s[4:5], v[134:135]
	v_fma_f64 v[134:135], v[52:53], s[6:7], v[102:103]
	v_mul_f64 v[42:43], v[42:43], s[12:13]
	v_fma_f64 v[80:81], v[76:77], s[12:13], v[100:101]
	v_fma_f64 v[120:121], v[68:69], s[6:7], v[74:75]
	v_add_f64 v[102:103], v[106:107], v[62:63]
	v_fma_f64 v[54:55], v[50:51], s[6:7], v[54:55]
	v_add_f64 v[74:75], v[106:107], -v[62:63]
	v_fma_f64 v[38:39], v[48:49], s[14:15], v[38:39]
	v_mul_f64 v[62:63], v[134:135], s[14:15]
	v_add_f64 v[114:115], v[16:17], -v[24:25]
	v_fma_f64 v[42:43], v[72:73], s[16:17], v[42:43]
	v_fma_f64 v[126:127], v[138:139], s[6:7], v[80:81]
	;; [unrolled: 1-line block ×3, first 2 shown]
	v_add_f64 v[100:101], v[104:105], v[60:61]
	v_add_f64 v[72:73], v[104:105], -v[60:61]
	v_mul_f64 v[60:61], v[54:55], s[10:11]
	v_fma_f64 v[54:55], v[54:55], s[6:7], v[62:63]
	v_fma_f64 v[38:39], v[36:37], s[4:5], v[38:39]
	;; [unrolled: 1-line block ×4, first 2 shown]
	v_add_f64 v[104:105], v[120:121], v[82:83]
	v_add_f64 v[106:107], v[126:127], v[42:43]
	v_add_f64 v[80:81], v[120:121], -v[82:83]
	v_add_f64 v[82:83], v[126:127], -v[42:43]
	v_add_f64 v[42:43], v[70:71], v[112:113]
	v_add_f64 v[70:71], v[78:79], v[114:115]
	v_fma_f64 v[40:41], v[132:133], s[12:13], v[40:41]
	v_fma_f64 v[78:79], v[66:67], s[14:15], v[32:33]
	;; [unrolled: 1-line block ×18, first 2 shown]
	v_mul_f64 v[78:79], v[40:41], s[6:7]
	v_fma_f64 v[32:33], v[42:43], s[6:7], v[32:33]
	v_mul_f64 v[42:43], v[38:39], s[6:7]
	v_fma_f64 v[62:63], v[70:71], s[6:7], v[62:63]
	v_fma_f64 v[34:35], v[70:71], s[6:7], v[34:35]
	;; [unrolled: 1-line block ×4, first 2 shown]
	v_mul_f64 v[66:67], v[50:51], s[16:17]
	v_mul_f64 v[70:71], v[36:37], s[16:17]
	v_fma_f64 v[60:61], v[134:135], s[6:7], v[60:61]
	v_fma_f64 v[38:39], v[38:39], s[10:11], -v[78:79]
	v_fma_f64 v[40:41], v[40:41], s[14:15], -v[42:43]
	v_add_f64 v[110:111], v[62:63], v[54:55]
	v_fma_f64 v[42:43], v[68:69], s[6:7], v[48:49]
	v_fma_f64 v[48:49], v[138:139], s[6:7], v[64:65]
	v_fma_f64 v[36:37], v[36:37], s[4:5], -v[66:67]
	v_fma_f64 v[50:51], v[50:51], s[12:13], -v[70:71]
	v_add_f64 v[108:109], v[52:53], v[60:61]
	v_add_f64 v[116:117], v[32:33], v[38:39]
	;; [unrolled: 1-line block ×3, first 2 shown]
	v_mul_u32_u24_e32 v89, 10, v84
	v_lshl_add_u32 v89, v89, 4, 0
	ds_read_b128 v[16:19], v99 offset:43200
	ds_read_b128 v[24:27], v99 offset:56160
	v_add_f64 v[112:113], v[52:53], -v[60:61]
	v_add_f64 v[114:115], v[62:63], -v[54:55]
	;; [unrolled: 1-line block ×4, first 2 shown]
	v_add_f64 v[124:125], v[42:43], v[36:37]
	v_add_f64 v[126:127], v[48:49], v[50:51]
	v_add_f64 v[128:129], v[42:43], -v[36:37]
	v_add_f64 v[130:131], v[48:49], -v[50:51]
	ds_read_b128 v[60:63], v99 offset:8640
	ds_read_b128 v[32:35], v99 offset:10800
	;; [unrolled: 1-line block ×10, first 2 shown]
	s_waitcnt lgkmcnt(0)
	s_barrier
	ds_write_b128 v89, v[100:103]
	ds_write_b128 v89, v[104:107] offset:16
	ds_write_b128 v89, v[108:111] offset:32
	;; [unrolled: 1-line block ×3, first 2 shown]
	v_add_f64 v[100:101], v[0:1], v[8:9]
	v_add_f64 v[102:103], v[2:3], v[10:11]
	ds_write_b128 v89, v[124:127] offset:64
	ds_write_b128 v89, v[72:75] offset:80
	;; [unrolled: 1-line block ×6, first 2 shown]
	v_add_f64 v[80:81], v[28:29], v[44:45]
	v_add_f64 v[82:83], v[30:31], -v[46:47]
	v_add_f64 v[104:105], v[30:31], v[46:47]
	v_add_f64 v[106:107], v[28:29], -v[44:45]
	v_add_f64 v[108:109], v[30:31], -v[10:11]
	v_add_f64 v[72:73], v[100:101], v[28:29]
	v_add_f64 v[74:75], v[102:103], v[30:31]
	v_add_f64 v[100:101], v[8:9], -v[28:29]
	v_add_f64 v[102:103], v[28:29], -v[8:9]
	;; [unrolled: 1-line block ×4, first 2 shown]
	v_add_f64 v[30:31], v[8:9], v[56:57]
	v_add_f64 v[112:113], v[8:9], -v[56:57]
	v_add_f64 v[8:9], v[10:11], v[58:59]
	v_add_f64 v[10:11], v[72:73], v[44:45]
	;; [unrolled: 1-line block ×5, first 2 shown]
	v_add_f64 v[116:117], v[56:57], -v[44:45]
	v_add_f64 v[118:119], v[44:45], -v[56:57]
	;; [unrolled: 1-line block ×4, first 2 shown]
	v_add_f64 v[10:11], v[10:11], v[56:57]
	v_add_f64 v[46:47], v[72:73], v[58:59]
	;; [unrolled: 1-line block ×5, first 2 shown]
	v_add_f64 v[114:115], v[76:77], -v[132:133]
	v_add_f64 v[122:123], v[132:133], -v[76:77]
	;; [unrolled: 1-line block ×5, first 2 shown]
	v_fma_f64 v[72:73], v[72:73], -0.5, v[60:61]
	v_add_f64 v[124:125], v[134:135], v[70:71]
	v_add_f64 v[128:129], v[78:79], -v[134:135]
	v_add_f64 v[130:131], v[134:135], -v[78:79]
	v_add_f64 v[134:135], v[76:77], v[64:65]
	v_add_f64 v[58:59], v[58:59], v[70:71]
	v_add_f64 v[136:137], v[64:65], -v[68:69]
	v_add_f64 v[76:77], v[76:77], -v[64:65]
	v_fma_f64 v[138:139], v[132:133], s[10:11], v[72:73]
	v_add_f64 v[78:79], v[78:79], v[66:67]
	v_add_f64 v[56:57], v[56:57], v[68:69]
	v_fma_f64 v[124:125], v[124:125], -0.5, v[62:63]
	v_add_f64 v[140:141], v[66:67], -v[70:71]
	v_add_f64 v[70:71], v[70:71], -v[66:67]
	v_add_f64 v[58:59], v[58:59], v[66:67]
	v_add_f64 v[66:67], v[114:115], v[136:137]
	v_fma_f64 v[114:115], v[74:75], s[4:5], v[138:139]
	v_fma_f64 v[60:61], v[134:135], -0.5, v[60:61]
	v_add_f64 v[68:69], v[68:69], -v[64:65]
	v_add_f64 v[56:57], v[56:57], v[64:65]
	v_fma_f64 v[64:65], v[76:77], s[14:15], v[124:125]
	v_fma_f64 v[80:81], v[80:81], -0.5, v[0:1]
	v_fma_f64 v[136:137], v[30:31], -0.5, v[0:1]
	;; [unrolled: 1-line block ×4, first 2 shown]
	v_fma_f64 v[30:31], v[66:67], s[6:7], v[114:115]
	v_add_f64 v[114:115], v[28:29], v[44:45]
	v_fma_f64 v[44:45], v[74:75], s[14:15], v[60:61]
	v_add_f64 v[128:129], v[128:129], v[140:141]
	;; [unrolled: 2-line block ×3, first 2 shown]
	v_fma_f64 v[64:65], v[110:111], s[10:11], v[80:81]
	v_fma_f64 v[100:101], v[112:113], s[14:15], v[104:105]
	;; [unrolled: 1-line block ×3, first 2 shown]
	v_add_f64 v[68:69], v[122:123], v[68:69]
	v_fma_f64 v[44:45], v[132:133], s[4:5], v[44:45]
	v_mul_f64 v[116:117], v[30:31], s[16:17]
	v_fma_f64 v[0:1], v[128:129], s[6:7], v[0:1]
	v_mul_f64 v[30:31], v[30:31], s[12:13]
	v_fma_f64 v[64:65], v[82:83], s[4:5], v[64:65]
	v_fma_f64 v[100:101], v[106:107], s[12:13], v[100:101]
	v_add_f64 v[70:71], v[130:131], v[70:71]
	v_fma_f64 v[28:29], v[76:77], s[12:13], v[28:29]
	v_fma_f64 v[138:139], v[68:69], s[6:7], v[44:45]
	v_fma_f64 v[122:123], v[8:9], -0.5, v[2:3]
	v_fma_f64 v[116:117], v[0:1], s[4:5], v[116:117]
	v_fma_f64 v[130:131], v[0:1], s[16:17], v[30:31]
	v_fma_f64 v[64:65], v[78:79], s[6:7], v[64:65]
	v_fma_f64 v[100:101], v[114:115], s[6:7], v[100:101]
	v_add_f64 v[0:1], v[10:11], v[56:57]
	v_fma_f64 v[134:135], v[70:71], s[6:7], v[28:29]
	v_add_f64 v[2:3], v[46:47], v[58:59]
	v_add_f64 v[8:9], v[10:11], -v[56:57]
	v_add_f64 v[10:11], v[46:47], -v[58:59]
	v_mul_f64 v[58:59], v[138:139], s[14:15]
	v_fma_f64 v[60:61], v[74:75], s[10:11], v[60:61]
	v_add_f64 v[28:29], v[64:65], v[116:117]
	v_add_f64 v[30:31], v[100:101], v[130:131]
	v_add_f64 v[44:45], v[64:65], -v[116:117]
	v_add_f64 v[46:47], v[100:101], -v[130:131]
	v_fma_f64 v[64:65], v[82:83], s[14:15], v[136:137]
	v_fma_f64 v[100:101], v[82:83], s[10:11], v[136:137]
	v_add_f64 v[102:103], v[102:103], v[118:119]
	v_fma_f64 v[116:117], v[134:135], s[6:7], v[58:59]
	v_fma_f64 v[58:59], v[126:127], s[14:15], v[62:63]
	v_fma_f64 v[60:61], v[132:133], s[12:13], v[60:61]
	v_fma_f64 v[72:73], v[132:133], s[14:15], v[72:73]
	v_fma_f64 v[118:119], v[76:77], s[10:11], v[124:125]
	v_fma_f64 v[62:63], v[110:111], s[4:5], v[64:65]
	v_fma_f64 v[64:65], v[110:111], s[12:13], v[100:101]
	v_fma_f64 v[100:101], v[106:107], s[10:11], v[122:123]
	v_mul_f64 v[56:57], v[134:135], s[10:11]
	v_fma_f64 v[58:59], v[76:77], s[4:5], v[58:59]
	v_fma_f64 v[68:69], v[68:69], s[6:7], v[60:61]
	;; [unrolled: 1-line block ×4, first 2 shown]
	v_add_f64 v[108:109], v[108:109], v[120:121]
	v_fma_f64 v[120:121], v[106:107], s[14:15], v[122:123]
	v_fma_f64 v[76:77], v[102:103], s[6:7], v[64:65]
	;; [unrolled: 1-line block ×11, first 2 shown]
	v_mul_f64 v[70:71], v[68:69], s[6:7]
	v_mul_f64 v[102:103], v[58:59], s[6:7]
	v_fma_f64 v[80:81], v[82:83], s[12:13], v[80:81]
	v_fma_f64 v[82:83], v[106:107], s[4:5], v[100:101]
	v_mul_f64 v[100:101], v[66:67], s[16:17]
	v_mul_f64 v[104:105], v[72:73], s[16:17]
	v_fma_f64 v[64:65], v[108:109], s[6:7], v[64:65]
	v_fma_f64 v[74:75], v[108:109], s[6:7], v[74:75]
	v_fma_f64 v[70:71], v[58:59], s[10:11], -v[70:71]
	v_add_f64 v[58:59], v[62:63], v[56:57]
	v_fma_f64 v[102:103], v[68:69], s[14:15], -v[102:103]
	v_add_f64 v[62:63], v[62:63], -v[56:57]
	v_fma_f64 v[56:57], v[78:79], s[6:7], v[80:81]
	v_fma_f64 v[80:81], v[114:115], s[6:7], v[82:83]
	v_fma_f64 v[78:79], v[72:73], s[4:5], -v[100:101]
	v_fma_f64 v[82:83], v[66:67], s[12:13], -v[104:105]
	v_add_f64 v[100:101], v[4:5], v[12:13]
	v_add_f64 v[104:105], v[6:7], v[14:15]
	v_add_f64 v[66:67], v[76:77], v[70:71]
	v_add_f64 v[68:69], v[74:75], v[102:103]
	v_add_f64 v[70:71], v[76:77], -v[70:71]
	v_add_f64 v[72:73], v[74:75], -v[102:103]
	v_add_f64 v[74:75], v[56:57], v[78:79]
	v_add_f64 v[76:77], v[80:81], v[82:83]
	v_add_f64 v[78:79], v[56:57], -v[78:79]
	v_add_f64 v[80:81], v[80:81], -v[82:83]
	v_add_f64 v[56:57], v[100:101], v[20:21]
	v_add_f64 v[82:83], v[104:105], v[22:23]
	;; [unrolled: 1-line block ×3, first 2 shown]
	v_add_f64 v[64:65], v[64:65], -v[116:117]
	v_add_f64 v[100:101], v[20:21], v[16:17]
	v_add_f64 v[102:103], v[22:23], -v[18:19]
	v_add_f64 v[104:105], v[12:13], -v[20:21]
	;; [unrolled: 1-line block ×3, first 2 shown]
	v_add_f64 v[108:109], v[22:23], v[18:19]
	v_add_f64 v[110:111], v[20:21], -v[16:17]
	v_add_f64 v[20:21], v[14:15], -v[22:23]
	;; [unrolled: 1-line block ×4, first 2 shown]
	v_add_f64 v[22:23], v[12:13], v[24:25]
	v_add_f64 v[116:117], v[12:13], -v[24:25]
	v_add_f64 v[12:13], v[14:15], v[26:27]
	v_add_f64 v[14:15], v[56:57], v[16:17]
	;; [unrolled: 1-line block ×5, first 2 shown]
	v_add_f64 v[120:121], v[24:25], -v[16:17]
	v_add_f64 v[122:123], v[16:17], -v[24:25]
	v_add_f64 v[16:17], v[26:27], -v[18:19]
	v_add_f64 v[124:125], v[18:19], -v[26:27]
	v_add_f64 v[14:15], v[14:15], v[24:25]
	v_add_f64 v[18:19], v[56:57], v[26:27]
	;; [unrolled: 1-line block ×6, first 2 shown]
	v_add_f64 v[132:133], v[50:51], -v[42:43]
	v_add_f64 v[134:135], v[48:49], v[40:41]
	v_add_f64 v[82:83], v[54:55], -v[38:39]
	v_add_f64 v[118:119], v[48:49], -v[52:53]
	v_fma_f64 v[56:57], v[56:57], -0.5, v[32:33]
	v_add_f64 v[126:127], v[52:53], -v[48:49]
	v_add_f64 v[130:131], v[50:51], -v[54:55]
	;; [unrolled: 1-line block ×4, first 2 shown]
	v_add_f64 v[50:51], v[50:51], v[42:43]
	v_add_f64 v[24:25], v[24:25], v[36:37]
	;; [unrolled: 1-line block ×3, first 2 shown]
	v_fma_f64 v[128:129], v[128:129], -0.5, v[34:35]
	v_add_f64 v[136:137], v[40:41], -v[36:37]
	v_fma_f64 v[138:139], v[132:133], s[10:11], v[56:57]
	v_fma_f64 v[32:33], v[134:135], -0.5, v[32:33]
	v_add_f64 v[52:53], v[52:53], -v[36:37]
	v_add_f64 v[36:37], v[36:37], -v[40:41]
	;; [unrolled: 1-line block ×4, first 2 shown]
	v_add_f64 v[24:25], v[24:25], v[40:41]
	v_add_f64 v[26:27], v[26:27], v[42:43]
	v_fma_f64 v[40:41], v[48:49], s[14:15], v[128:129]
	v_add_f64 v[42:43], v[118:119], v[136:137]
	v_fma_f64 v[118:119], v[82:83], s[4:5], v[138:139]
	v_fma_f64 v[136:137], v[22:23], -0.5, v[4:5]
	v_fma_f64 v[22:23], v[50:51], -0.5, v[34:35]
	;; [unrolled: 1-line block ×3, first 2 shown]
	v_add_f64 v[50:51], v[104:105], v[120:121]
	v_add_f64 v[120:121], v[20:21], v[16:17]
	v_fma_f64 v[20:21], v[82:83], s[14:15], v[32:33]
	v_fma_f64 v[108:109], v[108:109], -0.5, v[6:7]
	v_add_f64 v[34:35], v[130:131], v[140:141]
	v_fma_f64 v[4:5], v[52:53], s[12:13], v[40:41]
	v_fma_f64 v[40:41], v[42:43], s[6:7], v[118:119]
	;; [unrolled: 1-line block ×4, first 2 shown]
	v_add_f64 v[36:37], v[126:127], v[36:37]
	v_fma_f64 v[20:21], v[132:133], s[4:5], v[20:21]
	v_fma_f64 v[118:119], v[116:117], s[14:15], v[108:109]
	v_add_f64 v[38:39], v[54:55], v[38:39]
	v_fma_f64 v[4:5], v[34:35], s[6:7], v[4:5]
	v_mul_f64 v[130:131], v[40:41], s[16:17]
	v_fma_f64 v[16:17], v[48:49], s[12:13], v[16:17]
	v_mul_f64 v[40:41], v[40:41], s[12:13]
	v_fma_f64 v[104:105], v[102:103], s[4:5], v[104:105]
	v_fma_f64 v[134:135], v[36:37], s[6:7], v[20:21]
	v_fma_f64 v[118:119], v[110:111], s[12:13], v[118:119]
	v_fma_f64 v[54:55], v[12:13], -0.5, v[6:7]
	v_add_f64 v[6:7], v[18:19], v[26:27]
	v_fma_f64 v[126:127], v[4:5], s[4:5], v[130:131]
	v_fma_f64 v[130:131], v[38:39], s[6:7], v[16:17]
	;; [unrolled: 1-line block ×4, first 2 shown]
	v_add_f64 v[4:5], v[14:15], v[24:25]
	v_add_f64 v[12:13], v[14:15], -v[24:25]
	v_add_f64 v[14:15], v[18:19], -v[26:27]
	v_fma_f64 v[26:27], v[82:83], s[10:11], v[32:33]
	v_mul_f64 v[32:33], v[134:135], s[14:15]
	v_fma_f64 v[118:119], v[120:121], s[6:7], v[118:119]
	v_mul_f64 v[24:25], v[130:131], s[10:11]
	v_fma_f64 v[138:139], v[52:53], s[14:15], v[22:23]
	v_add_f64 v[16:17], v[104:105], v[126:127]
	v_add_f64 v[20:21], v[104:105], -v[126:127]
	v_add_f64 v[104:105], v[112:113], v[124:125]
	v_fma_f64 v[112:113], v[130:131], s[6:7], v[32:33]
	v_fma_f64 v[32:33], v[132:133], s[14:15], v[56:57]
	v_add_f64 v[18:19], v[118:119], v[40:41]
	v_add_f64 v[22:23], v[118:119], -v[40:41]
	v_add_f64 v[40:41], v[106:107], v[122:123]
	v_fma_f64 v[106:107], v[134:135], s[6:7], v[24:25]
	v_fma_f64 v[24:25], v[132:133], s[12:13], v[26:27]
	v_fma_f64 v[26:27], v[48:49], s[4:5], v[138:139]
	v_fma_f64 v[48:49], v[48:49], s[10:11], v[128:129]
	v_fma_f64 v[56:57], v[102:103], s[14:15], v[136:137]
	v_fma_f64 v[118:119], v[110:111], s[10:11], v[54:55]
	v_fma_f64 v[32:33], v[82:83], s[12:13], v[32:33]
	v_fma_f64 v[122:123], v[102:103], s[10:11], v[136:137]
	v_fma_f64 v[82:83], v[116:117], s[10:11], v[108:109]
	v_fma_f64 v[36:37], v[36:37], s[6:7], v[24:25]
	v_fma_f64 v[24:25], v[110:111], s[14:15], v[54:55]
	v_fma_f64 v[48:49], v[52:53], s[4:5], v[48:49]
	v_fma_f64 v[26:27], v[38:39], s[6:7], v[26:27]
	v_fma_f64 v[38:39], v[114:115], s[4:5], v[56:57]
	v_fma_f64 v[54:55], v[116:117], s[12:13], v[118:119]
	v_fma_f64 v[56:57], v[114:115], s[14:15], v[100:101]
	v_fma_f64 v[32:33], v[42:43], s[6:7], v[32:33]
	v_fma_f64 v[52:53], v[114:115], s[12:13], v[122:123]
	v_fma_f64 v[24:25], v[116:117], s[4:5], v[24:25]
	v_fma_f64 v[34:35], v[34:35], s[6:7], v[48:49]
	v_mul_f64 v[48:49], v[36:37], s[6:7]
	v_fma_f64 v[82:83], v[110:111], s[4:5], v[82:83]
	v_fma_f64 v[42:43], v[104:105], s[6:7], v[54:55]
	v_mul_f64 v[54:55], v[26:27], s[6:7]
	v_fma_f64 v[56:57], v[102:103], s[12:13], v[56:57]
	v_mul_f64 v[100:101], v[32:33], s[16:17]
	;; [unrolled: 2-line block ×3, first 2 shown]
	v_fma_f64 v[40:41], v[40:41], s[6:7], v[52:53]
	v_fma_f64 v[52:53], v[104:105], s[6:7], v[24:25]
	v_fma_f64 v[48:49], v[26:27], s[10:11], -v[48:49]
	v_fma_f64 v[54:55], v[36:37], s[14:15], -v[54:55]
	v_fma_f64 v[56:57], v[50:51], s[6:7], v[56:57]
	v_fma_f64 v[100:101], v[34:35], s[4:5], -v[100:101]
	v_fma_f64 v[82:83], v[120:121], s[6:7], v[82:83]
	v_fma_f64 v[102:103], v[32:33], s[12:13], -v[102:103]
	v_add_f64 v[24:25], v[38:39], v[106:107]
	v_add_f64 v[26:27], v[42:43], v[112:113]
	v_add_f64 v[32:33], v[38:39], -v[106:107]
	v_add_f64 v[34:35], v[42:43], -v[112:113]
	v_add_f64 v[36:37], v[40:41], v[48:49]
	v_add_f64 v[38:39], v[52:53], v[54:55]
	v_add_f64 v[40:41], v[40:41], -v[48:49]
	v_add_f64 v[42:43], v[52:53], -v[54:55]
	v_add_f64 v[48:49], v[56:57], v[100:101]
	v_add_f64 v[52:53], v[56:57], -v[100:101]
	v_mul_i32_i24_e32 v56, 10, v88
	v_lshl_add_u32 v57, v56, 4, 0
	ds_write_b128 v57, v[0:3]
	ds_write_b128 v57, v[28:31] offset:16
	ds_write_b128 v57, v[58:61] offset:32
	;; [unrolled: 1-line block ×9, first 2 shown]
	v_mul_i32_i24_e32 v0, 10, v97
	s_movk_i32 s16, 0xcd
	v_add_f64 v[50:51], v[82:83], v[102:103]
	v_lshl_add_u32 v56, v0, 4, 0
	v_mul_lo_u16_sdwa v0, v84, s16 dst_sel:DWORD dst_unused:UNUSED_PAD src0_sel:BYTE_0 src1_sel:DWORD
	v_lshrrev_b16_e32 v64, 11, v0
	v_mul_lo_u16_e32 v0, 10, v64
	v_sub_u16_e32 v65, v84, v0
	v_mov_b32_e32 v0, 6
	v_add_f64 v[54:55], v[82:83], -v[102:103]
	ds_write_b128 v56, v[4:7]
	ds_write_b128 v56, v[16:19] offset:16
	ds_write_b128 v56, v[24:27] offset:32
	;; [unrolled: 1-line block ×9, first 2 shown]
	v_lshlrev_b32_sdwa v16, v0, v65 dst_sel:DWORD dst_unused:UNUSED_PAD src0_sel:DWORD src1_sel:BYTE_0
	s_waitcnt lgkmcnt(0)
	s_barrier
	global_load_dwordx4 v[0:3], v16, s[8:9]
	global_load_dwordx4 v[12:15], v16, s[8:9] offset:16
	global_load_dwordx4 v[8:11], v16, s[8:9] offset:32
	;; [unrolled: 1-line block ×3, first 2 shown]
	s_mov_b32 s16, 0xcccd
	v_mul_u32_u24_sdwa v16, v88, s16 dst_sel:DWORD dst_unused:UNUSED_PAD src0_sel:WORD_0 src1_sel:DWORD
	v_lshrrev_b32_e32 v63, 19, v16
	v_mul_lo_u16_e32 v16, 10, v63
	v_sub_u16_e32 v62, v88, v16
	v_lshlrev_b32_e32 v32, 6, v62
	global_load_dwordx4 v[16:19], v32, s[8:9]
	global_load_dwordx4 v[28:31], v32, s[8:9] offset:16
	global_load_dwordx4 v[24:27], v32, s[8:9] offset:32
	;; [unrolled: 1-line block ×3, first 2 shown]
	v_mul_u32_u24_sdwa v32, v97, s16 dst_sel:DWORD dst_unused:UNUSED_PAD src0_sel:WORD_0 src1_sel:DWORD
	v_lshrrev_b32_e32 v60, 19, v32
	v_mul_lo_u16_e32 v32, 10, v60
	v_sub_u16_e32 v61, v97, v32
	v_lshlrev_b32_e32 v52, 6, v61
	global_load_dwordx4 v[32:35], v52, s[8:9]
	global_load_dwordx4 v[36:39], v52, s[8:9] offset:16
	v_lshl_add_u32 v58, v93, 4, 0
	ds_read_b128 v[48:51], v58
	global_load_dwordx4 v[40:43], v52, s[8:9] offset:32
	global_load_dwordx4 v[44:47], v52, s[8:9] offset:48
	ds_read_b128 v[70:73], v99 offset:25920
	ds_read_b128 v[74:77], v99 offset:28080
	v_mul_u32_u24_sdwa v68, v96, s16 dst_sel:DWORD dst_unused:UNUSED_PAD src0_sel:WORD_0 src1_sel:DWORD
	v_lshrrev_b32_e32 v69, 19, v68
	v_mul_lo_u16_e32 v68, 10, v69
	v_sub_u16_e32 v68, v96, v68
	v_lshlrev_b32_e32 v89, 6, v68
	ds_read_b128 v[104:107], v99 offset:38880
	global_load_dwordx4 v[78:81], v89, s[8:9]
	global_load_dwordx4 v[100:103], v89, s[8:9] offset:16
	v_lshl_add_u32 v59, v96, 4, 0
	ds_read_b128 v[52:55], v59
	global_load_dwordx4 v[108:111], v89, s[8:9] offset:32
	global_load_dwordx4 v[112:115], v89, s[8:9] offset:48
	v_lshlrev_b32_e32 v62, 4, v62
	v_lshlrev_b32_e32 v68, 4, v68
	s_waitcnt vmcnt(15) lgkmcnt(4)
	v_mul_f64 v[66:67], v[50:51], v[2:3]
	v_mul_f64 v[2:3], v[48:49], v[2:3]
	s_waitcnt vmcnt(14) lgkmcnt(3)
	v_mul_f64 v[82:83], v[72:73], v[14:15]
	v_mul_f64 v[14:15], v[70:71], v[14:15]
	v_fma_f64 v[48:49], v[48:49], v[0:1], -v[66:67]
	v_fma_f64 v[144:145], v[50:51], v[0:1], v[2:3]
	ds_read_b128 v[0:3], v99 offset:41040
	s_waitcnt vmcnt(13) lgkmcnt(2)
	v_mul_f64 v[50:51], v[106:107], v[10:11]
	v_mul_f64 v[128:129], v[104:105], v[10:11]
	v_fma_f64 v[82:83], v[70:71], v[12:13], -v[82:83]
	v_fma_f64 v[146:147], v[72:73], v[12:13], v[14:15]
	ds_read_b128 v[10:13], v99 offset:51840
	ds_read_b128 v[70:73], v99 offset:54000
	v_mul_u32_u24_sdwa v14, v95, s16 dst_sel:DWORD dst_unused:UNUSED_PAD src0_sel:WORD_0 src1_sel:DWORD
	v_lshrrev_b32_e32 v66, 19, v14
	v_mul_lo_u16_e32 v14, 10, v66
	v_sub_u16_e32 v67, v95, v14
	s_waitcnt vmcnt(12) lgkmcnt(1)
	v_mul_f64 v[14:15], v[12:13], v[6:7]
	v_mul_f64 v[136:137], v[10:11], v[6:7]
	v_lshlrev_b32_e32 v89, 6, v67
	global_load_dwordx4 v[116:119], v89, s[8:9]
	global_load_dwordx4 v[120:123], v89, s[8:9] offset:16
	ds_read_b128 v[124:127], v99 offset:15120
	v_fma_f64 v[148:149], v[104:105], v[8:9], -v[50:51]
	v_fma_f64 v[150:151], v[106:107], v[8:9], v[128:129]
	v_fma_f64 v[152:153], v[10:11], v[4:5], -v[14:15]
	v_fma_f64 v[154:155], v[12:13], v[4:5], v[136:137]
	s_waitcnt vmcnt(11)
	v_mul_f64 v[4:5], v[2:3], v[26:27]
	v_mul_f64 v[26:27], v[0:1], v[26:27]
	global_load_dwordx4 v[6:9], v89, s[8:9] offset:32
	global_load_dwordx4 v[128:131], v89, s[8:9] offset:48
	v_mul_u32_u24_sdwa v10, v94, s16 dst_sel:DWORD dst_unused:UNUSED_PAD src0_sel:WORD_0 src1_sel:DWORD
	v_lshrrev_b32_e32 v50, 19, v10
	v_mul_lo_u16_e32 v10, 10, v50
	v_sub_u16_e32 v51, v94, v10
	v_fma_f64 v[164:165], v[0:1], v[24:25], -v[4:5]
	v_fma_f64 v[166:167], v[2:3], v[24:25], v[26:27]
	ds_read_b128 v[0:3], v99 offset:19440
	s_waitcnt lgkmcnt(1)
	v_mul_f64 v[138:139], v[126:127], v[18:19]
	v_lshlrev_b32_e32 v89, 6, v51
	global_load_dwordx4 v[132:135], v89, s[8:9]
	global_load_dwordx4 v[10:13], v89, s[8:9] offset:16
	v_mul_f64 v[140:141], v[76:77], v[30:31]
	v_mul_f64 v[14:15], v[74:75], v[30:31]
	;; [unrolled: 1-line block ×3, first 2 shown]
	ds_read_b128 v[104:107], v99
	v_fma_f64 v[156:157], v[124:125], v[16:17], -v[138:139]
	global_load_dwordx4 v[136:139], v89, s[8:9] offset:32
	s_movk_i32 s16, 0xff70
	v_fma_f64 v[160:161], v[74:75], v[28:29], -v[140:141]
	v_fma_f64 v[162:163], v[76:77], v[28:29], v[14:15]
	global_load_dwordx4 v[74:77], v89, s[8:9] offset:48
	v_fma_f64 v[158:159], v[126:127], v[16:17], v[18:19]
	s_waitcnt vmcnt(16)
	v_mul_f64 v[28:29], v[70:71], v[22:23]
	ds_read_b128 v[14:17], v99 offset:17280
	v_mul_f64 v[18:19], v[72:73], v[22:23]
	ds_read_b128 v[22:25], v99 offset:30240
	s_waitcnt vmcnt(15) lgkmcnt(1)
	v_mul_f64 v[4:5], v[16:17], v[34:35]
	v_mul_f64 v[30:31], v[14:15], v[34:35]
	v_fma_f64 v[170:171], v[72:73], v[20:21], v[28:29]
	ds_read_b128 v[26:29], v99 offset:43200
	s_waitcnt vmcnt(14) lgkmcnt(1)
	v_mul_f64 v[34:35], v[24:25], v[38:39]
	v_fma_f64 v[168:169], v[70:71], v[20:21], -v[18:19]
	ds_read_b128 v[18:21], v99 offset:32400
	v_mul_f64 v[38:39], v[22:23], v[38:39]
	v_fma_f64 v[172:173], v[14:15], v[32:33], -v[4:5]
	s_waitcnt vmcnt(13) lgkmcnt(1)
	v_mul_f64 v[4:5], v[28:29], v[42:43]
	v_mul_f64 v[14:15], v[26:27], v[42:43]
	ds_read_b128 v[70:73], v99 offset:56160
	ds_read_b128 v[124:127], v99 offset:45360
	;; [unrolled: 1-line block ×3, first 2 shown]
	v_fma_f64 v[174:175], v[16:17], v[32:33], v[30:31]
	v_fma_f64 v[176:177], v[22:23], v[36:37], -v[34:35]
	s_waitcnt vmcnt(10) lgkmcnt(3)
	v_mul_f64 v[16:17], v[20:21], v[102:103]
	v_mul_f64 v[22:23], v[18:19], v[102:103]
	v_fma_f64 v[180:181], v[26:27], v[40:41], -v[4:5]
	v_mul_f64 v[4:5], v[2:3], v[80:81]
	v_fma_f64 v[182:183], v[28:29], v[40:41], v[14:15]
	v_mul_f64 v[14:15], v[0:1], v[80:81]
	s_waitcnt lgkmcnt(2)
	v_mul_f64 v[42:43], v[72:73], v[46:47]
	v_mul_f64 v[46:47], v[70:71], v[46:47]
	s_waitcnt vmcnt(9) lgkmcnt(1)
	v_mul_f64 v[26:27], v[124:125], v[110:111]
	s_waitcnt vmcnt(8) lgkmcnt(0)
	v_mul_f64 v[28:29], v[140:141], v[114:115]
	v_fma_f64 v[190:191], v[18:19], v[100:101], -v[16:17]
	v_fma_f64 v[188:189], v[0:1], v[78:79], -v[4:5]
	v_mul_f64 v[4:5], v[142:143], v[114:115]
	v_fma_f64 v[114:115], v[2:3], v[78:79], v[14:15]
	v_fma_f64 v[192:193], v[20:21], v[100:101], v[22:23]
	ds_read_b128 v[0:3], v99 offset:21600
	ds_read_b128 v[14:17], v99 offset:23760
	;; [unrolled: 1-line block ×3, first 2 shown]
	v_fma_f64 v[178:179], v[24:25], v[36:37], v[38:39]
	v_fma_f64 v[184:185], v[70:71], v[44:45], -v[42:43]
	v_fma_f64 v[186:187], v[72:73], v[44:45], v[46:47]
	v_fma_f64 v[140:141], v[140:141], v[112:113], -v[4:5]
	v_mul_f64 v[24:25], v[126:127], v[110:111]
	v_fma_f64 v[126:127], v[126:127], v[108:109], v[26:27]
	v_fma_f64 v[112:113], v[142:143], v[112:113], v[28:29]
	ds_read_b128 v[26:29], v99 offset:47520
	ds_read_b128 v[36:39], v99 offset:36720
	s_waitcnt vmcnt(7) lgkmcnt(4)
	v_mul_f64 v[4:5], v[2:3], v[118:119]
	s_waitcnt vmcnt(6) lgkmcnt(2)
	v_mul_f64 v[30:31], v[20:21], v[122:123]
	ds_read_b128 v[40:43], v99 offset:49680
	ds_read_b128 v[44:47], v99 offset:60480
	v_mul_f64 v[22:23], v[0:1], v[118:119]
	v_mul_f64 v[70:71], v[18:19], v[122:123]
	v_fma_f64 v[124:125], v[124:125], v[108:109], -v[24:25]
	v_add_f64 v[80:81], v[146:147], -v[150:151]
	v_fma_f64 v[32:33], v[0:1], v[116:117], -v[4:5]
	s_waitcnt vmcnt(5) lgkmcnt(3)
	v_mul_f64 v[72:73], v[28:29], v[8:9]
	v_mul_f64 v[4:5], v[26:27], v[8:9]
	s_waitcnt vmcnt(4) lgkmcnt(0)
	v_mul_f64 v[8:9], v[46:47], v[130:131]
	v_fma_f64 v[34:35], v[18:19], v[120:121], -v[30:31]
	v_mul_f64 v[18:19], v[44:45], v[130:131]
	v_fma_f64 v[24:25], v[2:3], v[116:117], v[22:23]
	v_fma_f64 v[30:31], v[20:21], v[120:121], v[70:71]
	ds_read_b128 v[0:3], v99 offset:62640
	v_fma_f64 v[26:27], v[26:27], v[6:7], -v[72:73]
	v_fma_f64 v[28:29], v[28:29], v[6:7], v[4:5]
	v_fma_f64 v[20:21], v[44:45], v[128:129], -v[8:9]
	s_waitcnt vmcnt(3)
	v_mul_f64 v[4:5], v[16:17], v[134:135]
	v_mul_f64 v[6:7], v[14:15], v[134:135]
	s_waitcnt vmcnt(2)
	v_mul_f64 v[8:9], v[38:39], v[12:13]
	v_mul_f64 v[12:13], v[36:37], v[12:13]
	v_fma_f64 v[22:23], v[46:47], v[128:129], v[18:19]
	v_add_f64 v[18:19], v[82:83], v[148:149]
	v_add_f64 v[46:47], v[146:147], v[150:151]
	s_waitcnt vmcnt(1)
	v_mul_f64 v[44:45], v[42:43], v[138:139]
	v_fma_f64 v[14:15], v[14:15], v[132:133], -v[4:5]
	v_fma_f64 v[4:5], v[16:17], v[132:133], v[6:7]
	v_fma_f64 v[16:17], v[36:37], v[10:11], -v[8:9]
	v_fma_f64 v[8:9], v[38:39], v[10:11], v[12:13]
	v_mul_f64 v[10:11], v[40:41], v[138:139]
	v_fma_f64 v[36:37], v[18:19], -0.5, v[104:105]
	v_fma_f64 v[38:39], v[46:47], -0.5, v[106:107]
	v_fma_f64 v[6:7], v[40:41], v[136:137], -v[44:45]
	v_add_f64 v[44:45], v[144:145], -v[154:155]
	v_add_f64 v[46:47], v[48:49], -v[152:153]
	s_waitcnt vmcnt(0) lgkmcnt(0)
	v_mul_f64 v[12:13], v[2:3], v[76:77]
	v_mul_f64 v[40:41], v[0:1], v[76:77]
	v_add_f64 v[70:71], v[48:49], -v[82:83]
	v_add_f64 v[72:73], v[152:153], -v[148:149]
	;; [unrolled: 1-line block ×4, first 2 shown]
	v_fma_f64 v[78:79], v[44:45], s[10:11], v[36:37]
	v_fma_f64 v[102:103], v[46:47], s[14:15], v[38:39]
	v_add_f64 v[108:109], v[82:83], -v[148:149]
	v_fma_f64 v[18:19], v[42:43], v[136:137], v[10:11]
	v_fma_f64 v[10:11], v[0:1], v[74:75], -v[12:13]
	v_fma_f64 v[12:13], v[2:3], v[74:75], v[40:41]
	v_add_f64 v[0:1], v[70:71], v[72:73]
	v_add_f64 v[40:41], v[48:49], v[152:153]
	v_fma_f64 v[2:3], v[80:81], s[4:5], v[78:79]
	v_add_f64 v[70:71], v[76:77], v[100:101]
	v_fma_f64 v[42:43], v[108:109], s[12:13], v[102:103]
	v_fma_f64 v[72:73], v[44:45], s[14:15], v[36:37]
	;; [unrolled: 1-line block ×3, first 2 shown]
	v_add_f64 v[76:77], v[144:145], v[154:155]
	v_add_f64 v[78:79], v[104:105], v[48:49]
	;; [unrolled: 1-line block ×3, first 2 shown]
	v_fma_f64 v[37:38], v[0:1], s[6:7], v[2:3]
	v_fma_f64 v[2:3], v[40:41], -0.5, v[104:105]
	v_fma_f64 v[39:40], v[70:71], s[6:7], v[42:43]
	v_fma_f64 v[41:42], v[80:81], s[12:13], v[72:73]
	;; [unrolled: 1-line block ×3, first 2 shown]
	v_fma_f64 v[74:75], v[76:77], -0.5, v[106:107]
	v_add_f64 v[76:77], v[78:79], v[82:83]
	v_add_f64 v[48:49], v[82:83], -v[48:49]
	v_add_f64 v[82:83], v[100:101], v[146:147]
	v_fma_f64 v[78:79], v[80:81], s[14:15], v[2:3]
	v_add_f64 v[100:101], v[148:149], -v[152:153]
	v_add_f64 v[102:103], v[146:147], -v[144:145]
	;; [unrolled: 1-line block ×3, first 2 shown]
	v_fma_f64 v[106:107], v[108:109], s[10:11], v[74:75]
	v_fma_f64 v[2:3], v[80:81], s[10:11], v[2:3]
	;; [unrolled: 1-line block ×3, first 2 shown]
	v_add_f64 v[76:77], v[76:77], v[148:149]
	v_add_f64 v[80:81], v[82:83], v[150:151]
	;; [unrolled: 1-line block ×3, first 2 shown]
	v_fma_f64 v[78:79], v[44:45], s[4:5], v[78:79]
	v_add_f64 v[82:83], v[102:103], v[104:105]
	v_fma_f64 v[100:101], v[46:47], s[12:13], v[106:107]
	v_fma_f64 v[2:3], v[44:45], s[12:13], v[2:3]
	;; [unrolled: 1-line block ×3, first 2 shown]
	v_mov_b32_e32 v36, 4
	v_fma_f64 v[41:42], v[0:1], s[6:7], v[41:42]
	v_fma_f64 v[43:44], v[70:71], s[6:7], v[72:73]
	v_add_f64 v[70:71], v[76:77], v[152:153]
	v_add_f64 v[72:73], v[80:81], v[154:155]
	v_fma_f64 v[76:77], v[82:83], s[6:7], v[100:101]
	v_mul_u32_u24_e32 v0, 0x320, v64
	v_fma_f64 v[80:81], v[82:83], s[6:7], v[45:46]
	v_lshlrev_b32_sdwa v1, v36, v65 dst_sel:DWORD dst_unused:UNUSED_PAD src0_sel:DWORD src1_sel:BYTE_0
	v_add_f64 v[64:65], v[156:157], v[168:169]
	v_add_f64 v[82:83], v[158:159], v[170:171]
	v_fma_f64 v[74:75], v[48:49], s[6:7], v[78:79]
	v_fma_f64 v[78:79], v[48:49], s[6:7], v[2:3]
	v_mad_i32_i24 v49, v88, s16, v57
	v_mad_i32_i24 v48, v97, s16, v56
	ds_read_b128 v[100:103], v49
	ds_read_b128 v[104:107], v48
	v_add3_u32 v45, 0, v0, v1
	v_lshl_add_u32 v47, v95, 4, 0
	v_lshl_add_u32 v46, v94, 4, 0
	ds_read_b128 v[108:111], v47
	ds_read_b128 v[0:3], v46
	s_waitcnt lgkmcnt(0)
	s_barrier
	ds_write_b128 v45, v[70:73]
	v_fma_f64 v[64:65], v[64:65], -0.5, v[100:101]
	v_add_f64 v[70:71], v[162:163], -v[166:167]
	ds_write_b128 v45, v[37:40] offset:160
	v_fma_f64 v[37:38], v[82:83], -0.5, v[102:103]
	v_add_f64 v[72:73], v[160:161], -v[164:165]
	v_add_f64 v[39:40], v[160:161], -v[156:157]
	;; [unrolled: 1-line block ×5, first 2 shown]
	v_fma_f64 v[120:121], v[70:71], s[14:15], v[64:65]
	v_add_f64 v[122:123], v[166:167], -v[170:171]
	v_add_f64 v[128:129], v[156:157], -v[168:169]
	v_fma_f64 v[130:131], v[72:73], s[10:11], v[37:38]
	ds_write_b128 v45, v[74:77] offset:320
	ds_write_b128 v45, v[78:81] offset:480
	;; [unrolled: 1-line block ×3, first 2 shown]
	v_add_f64 v[41:42], v[39:40], v[82:83]
	v_add_f64 v[43:44], v[160:161], v[164:165]
	v_fma_f64 v[78:79], v[72:73], s[14:15], v[37:38]
	v_fma_f64 v[39:40], v[118:119], s[4:5], v[120:121]
	v_add_f64 v[74:75], v[116:117], v[122:123]
	v_add_f64 v[80:81], v[162:163], v[166:167]
	v_fma_f64 v[76:77], v[128:129], s[12:13], v[130:131]
	v_fma_f64 v[64:65], v[70:71], s[10:11], v[64:65]
	v_add_f64 v[82:83], v[100:101], v[156:157]
	v_fma_f64 v[43:44], v[43:44], -0.5, v[100:101]
	v_add_f64 v[100:101], v[102:103], v[158:159]
	v_fma_f64 v[37:38], v[41:42], s[6:7], v[39:40]
	v_add_f64 v[116:117], v[168:169], -v[164:165]
	v_add_f64 v[120:121], v[158:159], -v[162:163]
	v_fma_f64 v[39:40], v[74:75], s[6:7], v[76:77]
	v_fma_f64 v[76:77], v[128:129], s[4:5], v[78:79]
	v_fma_f64 v[78:79], v[80:81], -0.5, v[102:103]
	v_fma_f64 v[64:65], v[118:119], s[12:13], v[64:65]
	v_add_f64 v[80:81], v[82:83], v[160:161]
	v_add_f64 v[82:83], v[156:157], -v[160:161]
	v_fma_f64 v[102:103], v[118:119], s[10:11], v[43:44]
	v_add_f64 v[100:101], v[100:101], v[162:163]
	v_add_f64 v[122:123], v[170:171], -v[166:167]
	v_fma_f64 v[43:44], v[118:119], s[14:15], v[43:44]
	v_fma_f64 v[130:131], v[128:129], s[14:15], v[78:79]
	v_fma_f64 v[78:79], v[128:129], s[10:11], v[78:79]
	v_add_f64 v[80:81], v[80:81], v[164:165]
	v_add_f64 v[82:83], v[82:83], v[116:117]
	v_fma_f64 v[102:103], v[70:71], s[4:5], v[102:103]
	v_add_f64 v[100:101], v[100:101], v[166:167]
	v_add_f64 v[116:117], v[120:121], v[122:123]
	v_fma_f64 v[120:121], v[70:71], s[12:13], v[43:44]
	v_fma_f64 v[41:42], v[41:42], s[6:7], v[64:65]
	;; [unrolled: 1-line block ×5, first 2 shown]
	v_add_f64 v[70:71], v[80:81], v[168:169]
	v_add_f64 v[72:73], v[100:101], v[170:171]
	v_fma_f64 v[74:75], v[82:83], s[6:7], v[102:103]
	v_fma_f64 v[78:79], v[82:83], s[6:7], v[120:121]
	v_add_f64 v[82:83], v[172:173], v[184:185]
	v_fma_f64 v[80:81], v[116:117], s[6:7], v[64:65]
	v_mul_u32_u24_e32 v45, 0x320, v63
	v_add_f64 v[63:64], v[174:175], v[186:187]
	v_fma_f64 v[76:77], v[116:117], s[6:7], v[118:119]
	v_add3_u32 v45, 0, v45, v62
	ds_write_b128 v45, v[70:73]
	ds_write_b128 v45, v[74:77] offset:160
	v_fma_f64 v[70:71], v[82:83], -0.5, v[104:105]
	v_add_f64 v[72:73], v[178:179], -v[182:183]
	ds_write_b128 v45, v[37:40] offset:320
	v_fma_f64 v[37:38], v[63:64], -0.5, v[106:107]
	v_add_f64 v[62:63], v[176:177], -v[180:181]
	v_add_f64 v[39:40], v[176:177], -v[172:173]
	;; [unrolled: 1-line block ×5, first 2 shown]
	v_fma_f64 v[82:83], v[72:73], s[14:15], v[70:71]
	v_add_f64 v[100:101], v[182:183], -v[186:187]
	v_add_f64 v[102:103], v[172:173], -v[184:185]
	v_fma_f64 v[116:117], v[62:63], s[10:11], v[37:38]
	ds_write_b128 v45, v[41:44] offset:480
	v_fma_f64 v[41:42], v[72:73], s[10:11], v[70:71]
	v_add_f64 v[43:44], v[39:40], v[64:65]
	v_add_f64 v[64:65], v[176:177], v[180:181]
	ds_write_b128 v45, v[78:81] offset:640
	v_fma_f64 v[39:40], v[76:77], s[4:5], v[82:83]
	v_add_f64 v[70:71], v[74:75], v[100:101]
	v_fma_f64 v[74:75], v[102:103], s[12:13], v[116:117]
	v_fma_f64 v[78:79], v[62:63], s[14:15], v[37:38]
	;; [unrolled: 1-line block ×3, first 2 shown]
	v_add_f64 v[80:81], v[178:179], v[182:183]
	v_add_f64 v[82:83], v[104:105], v[172:173]
	v_fma_f64 v[64:65], v[64:65], -0.5, v[104:105]
	v_add_f64 v[100:101], v[106:107], v[174:175]
	v_fma_f64 v[37:38], v[43:44], s[6:7], v[39:40]
	v_fma_f64 v[39:40], v[70:71], s[6:7], v[74:75]
	;; [unrolled: 1-line block ×4, first 2 shown]
	v_fma_f64 v[43:44], v[80:81], -0.5, v[106:107]
	v_add_f64 v[78:79], v[82:83], v[176:177]
	v_add_f64 v[80:81], v[172:173], -v[176:177]
	v_fma_f64 v[82:83], v[76:77], s[10:11], v[64:65]
	v_add_f64 v[100:101], v[100:101], v[178:179]
	v_add_f64 v[104:105], v[184:185], -v[180:181]
	v_fma_f64 v[64:65], v[76:77], s[14:15], v[64:65]
	v_add_f64 v[106:107], v[174:175], -v[178:179]
	v_add_f64 v[116:117], v[186:187], -v[182:183]
	v_fma_f64 v[118:119], v[102:103], s[14:15], v[43:44]
	v_add_f64 v[76:77], v[78:79], v[180:181]
	v_fma_f64 v[82:83], v[72:73], s[4:5], v[82:83]
	v_add_f64 v[100:101], v[100:101], v[182:183]
	v_add_f64 v[80:81], v[80:81], v[104:105]
	v_fma_f64 v[78:79], v[102:103], s[10:11], v[43:44]
	v_fma_f64 v[43:44], v[70:71], s[6:7], v[74:75]
	;; [unrolled: 1-line block ×3, first 2 shown]
	v_mul_u32_u24_e32 v45, 0x320, v60
	v_lshlrev_b32_e32 v60, 4, v61
	v_add_f64 v[102:103], v[106:107], v[116:117]
	v_add_f64 v[64:65], v[100:101], v[186:187]
	v_fma_f64 v[70:71], v[80:81], s[6:7], v[82:83]
	v_add_f64 v[82:83], v[188:189], v[140:141]
	v_add_f64 v[100:101], v[114:115], v[112:113]
	v_fma_f64 v[104:105], v[62:63], s[12:13], v[118:119]
	v_fma_f64 v[74:75], v[80:81], s[6:7], v[74:75]
	v_add3_u32 v45, 0, v45, v60
	v_fma_f64 v[78:79], v[62:63], s[4:5], v[78:79]
	v_add_f64 v[62:63], v[76:77], v[184:185]
	v_add_f64 v[106:107], v[126:127], -v[112:113]
	v_fma_f64 v[60:61], v[82:83], -0.5, v[52:53]
	v_fma_f64 v[80:81], v[100:101], -0.5, v[54:55]
	v_add_f64 v[82:83], v[190:191], -v[124:125]
	v_fma_f64 v[72:73], v[102:103], s[6:7], v[104:105]
	v_add_f64 v[104:105], v[192:193], -v[114:115]
	v_add_f64 v[120:121], v[188:189], -v[140:141]
	ds_write_b128 v45, v[62:65]
	ds_write_b128 v45, v[70:73] offset:160
	ds_write_b128 v45, v[37:40] offset:320
	v_fma_f64 v[122:123], v[82:83], s[10:11], v[80:81]
	v_add_f64 v[64:65], v[104:105], v[106:107]
	v_add_f64 v[39:40], v[190:191], v[124:125]
	ds_write_b128 v45, v[41:44] offset:480
	v_add_f64 v[41:42], v[192:193], v[126:127]
	v_fma_f64 v[76:77], v[102:103], s[6:7], v[78:79]
	v_add_f64 v[78:79], v[192:193], -v[126:127]
	v_add_f64 v[116:117], v[114:115], -v[112:113]
	v_fma_f64 v[70:71], v[120:121], s[12:13], v[122:123]
	v_add_f64 v[43:44], v[52:53], v[188:189]
	v_fma_f64 v[52:53], v[39:40], -0.5, v[52:53]
	v_add_f64 v[100:101], v[190:191], -v[188:189]
	v_add_f64 v[102:103], v[124:125], -v[140:141]
	v_fma_f64 v[41:42], v[41:42], -0.5, v[54:55]
	v_fma_f64 v[118:119], v[78:79], s[14:15], v[60:61]
	ds_write_b128 v45, v[74:77] offset:640
	v_fma_f64 v[39:40], v[64:65], s[6:7], v[70:71]
	v_add_f64 v[70:71], v[54:55], v[114:115]
	v_fma_f64 v[60:61], v[78:79], s[10:11], v[60:61]
	v_add_f64 v[43:44], v[43:44], v[190:191]
	v_add_f64 v[54:55], v[188:189], -v[190:191]
	v_fma_f64 v[72:73], v[82:83], s[14:15], v[80:81]
	v_fma_f64 v[74:75], v[116:117], s[10:11], v[52:53]
	v_add_f64 v[76:77], v[140:141], -v[124:125]
	v_add_f64 v[62:63], v[100:101], v[102:103]
	v_add_f64 v[70:71], v[70:71], v[192:193]
	v_add_f64 v[80:81], v[114:115], -v[192:193]
	v_add_f64 v[100:101], v[112:113], -v[126:127]
	v_fma_f64 v[102:103], v[120:121], s[14:15], v[41:42]
	v_fma_f64 v[37:38], v[116:117], s[4:5], v[118:119]
	v_fma_f64 v[60:61], v[116:117], s[12:13], v[60:61]
	v_fma_f64 v[52:53], v[116:117], s[14:15], v[52:53]
	v_fma_f64 v[72:73], v[120:121], s[4:5], v[72:73]
	v_add_f64 v[106:107], v[43:44], v[124:125]
	v_add_f64 v[70:71], v[70:71], v[126:127]
	;; [unrolled: 1-line block ×3, first 2 shown]
	v_fma_f64 v[74:75], v[78:79], s[4:5], v[74:75]
	v_add_f64 v[80:81], v[80:81], v[100:101]
	v_fma_f64 v[100:101], v[82:83], s[12:13], v[102:103]
	v_fma_f64 v[37:38], v[62:63], s[6:7], v[37:38]
	;; [unrolled: 1-line block ×6, first 2 shown]
	v_add_f64 v[52:53], v[106:107], v[140:141]
	v_add_f64 v[54:55], v[70:71], v[112:113]
	v_fma_f64 v[60:61], v[76:77], s[6:7], v[74:75]
	v_add_f64 v[64:65], v[32:33], v[20:21]
	v_add_f64 v[74:75], v[24:25], v[22:23]
	v_fma_f64 v[62:63], v[80:81], s[6:7], v[100:101]
	v_mul_u32_u24_e32 v45, 0x320, v69
	v_add3_u32 v45, 0, v45, v68
	v_fma_f64 v[82:83], v[82:83], s[4:5], v[104:105]
	ds_write_b128 v45, v[52:55]
	ds_write_b128 v45, v[60:63] offset:160
	v_fma_f64 v[52:53], v[64:65], -0.5, v[108:109]
	v_add_f64 v[54:55], v[30:31], -v[28:29]
	ds_write_b128 v45, v[37:40] offset:320
	v_fma_f64 v[37:38], v[74:75], -0.5, v[110:111]
	v_add_f64 v[60:61], v[34:35], -v[26:27]
	v_fma_f64 v[70:71], v[76:77], s[6:7], v[78:79]
	v_fma_f64 v[72:73], v[80:81], s[6:7], v[82:83]
	v_add_f64 v[39:40], v[34:35], -v[32:33]
	v_add_f64 v[62:63], v[26:27], -v[20:21]
	;; [unrolled: 1-line block ×4, first 2 shown]
	v_fma_f64 v[74:75], v[54:55], s[14:15], v[52:53]
	v_add_f64 v[76:77], v[28:29], -v[22:23]
	v_add_f64 v[78:79], v[32:33], -v[20:21]
	v_fma_f64 v[80:81], v[60:61], s[10:11], v[37:38]
	ds_write_b128 v45, v[41:44] offset:480
	v_fma_f64 v[41:42], v[54:55], s[10:11], v[52:53]
	v_add_f64 v[52:53], v[34:35], v[26:27]
	ds_write_b128 v45, v[70:73] offset:640
	v_add_f64 v[43:44], v[39:40], v[62:63]
	v_fma_f64 v[39:40], v[68:69], s[4:5], v[74:75]
	v_add_f64 v[62:63], v[64:65], v[76:77]
	v_fma_f64 v[64:65], v[78:79], s[12:13], v[80:81]
	v_fma_f64 v[70:71], v[60:61], s[14:15], v[37:38]
	;; [unrolled: 1-line block ×3, first 2 shown]
	v_add_f64 v[72:73], v[30:31], v[28:29]
	v_add_f64 v[74:75], v[108:109], v[32:33]
	v_fma_f64 v[52:53], v[52:53], -0.5, v[108:109]
	v_add_f64 v[76:77], v[110:111], v[24:25]
	v_fma_f64 v[37:38], v[43:44], s[6:7], v[39:40]
	v_fma_f64 v[39:40], v[62:63], s[6:7], v[64:65]
	;; [unrolled: 1-line block ×4, first 2 shown]
	v_fma_f64 v[43:44], v[72:73], -0.5, v[110:111]
	v_add_f64 v[70:71], v[74:75], v[34:35]
	v_add_f64 v[32:33], v[32:33], -v[34:35]
	v_fma_f64 v[34:35], v[68:69], s[10:11], v[52:53]
	v_add_f64 v[72:73], v[76:77], v[30:31]
	v_add_f64 v[74:75], v[20:21], -v[26:27]
	v_fma_f64 v[52:53], v[68:69], s[14:15], v[52:53]
	v_add_f64 v[24:25], v[24:25], -v[30:31]
	v_add_f64 v[30:31], v[22:23], -v[28:29]
	v_fma_f64 v[76:77], v[78:79], s[14:15], v[43:44]
	v_add_f64 v[26:27], v[70:71], v[26:27]
	v_fma_f64 v[68:69], v[78:79], s[10:11], v[43:44]
	v_add_f64 v[28:29], v[72:73], v[28:29]
	v_add_f64 v[32:33], v[32:33], v[74:75]
	v_fma_f64 v[34:35], v[54:55], s[4:5], v[34:35]
	v_fma_f64 v[52:53], v[54:55], s[12:13], v[52:53]
	v_add_f64 v[30:31], v[24:25], v[30:31]
	v_fma_f64 v[70:71], v[60:61], s[12:13], v[76:77]
	v_add_f64 v[20:21], v[26:27], v[20:21]
	;; [unrolled: 2-line block ×3, first 2 shown]
	v_mul_u32_u24_e32 v45, 0x320, v66
	v_fma_f64 v[24:25], v[32:33], s[6:7], v[34:35]
	v_fma_f64 v[28:29], v[32:33], s[6:7], v[52:53]
	v_add_f64 v[32:33], v[4:5], v[12:13]
	v_lshlrev_b32_e32 v52, 4, v67
	v_add_f64 v[34:35], v[14:15], v[10:11]
	v_add3_u32 v45, 0, v45, v52
	v_fma_f64 v[26:27], v[30:31], s[6:7], v[70:71]
	v_fma_f64 v[30:31], v[30:31], s[6:7], v[54:55]
	ds_write_b128 v45, v[20:23]
	v_add_f64 v[54:55], v[16:17], -v[6:7]
	v_fma_f64 v[32:33], v[32:33], -0.5, v[2:3]
	v_add_f64 v[20:21], v[16:17], -v[14:15]
	v_add_f64 v[22:23], v[6:7], -v[10:11]
	v_fma_f64 v[43:44], v[62:63], s[6:7], v[64:65]
	v_fma_f64 v[34:35], v[34:35], -0.5, v[0:1]
	v_add_f64 v[52:53], v[8:9], -v[18:19]
	v_add_f64 v[60:61], v[8:9], -v[4:5]
	;; [unrolled: 1-line block ×4, first 2 shown]
	v_fma_f64 v[70:71], v[54:55], s[10:11], v[32:33]
	ds_write_b128 v45, v[24:27] offset:160
	ds_write_b128 v45, v[37:40] offset:320
	;; [unrolled: 1-line block ×3, first 2 shown]
	v_add_f64 v[24:25], v[20:21], v[22:23]
	v_add_f64 v[22:23], v[16:17], v[6:7]
	ds_write_b128 v45, v[28:31] offset:640
	v_add_f64 v[30:31], v[8:9], v[18:19]
	v_fma_f64 v[64:65], v[52:53], s[14:15], v[34:35]
	v_fma_f64 v[28:29], v[52:53], s[10:11], v[34:35]
	v_add_f64 v[34:35], v[0:1], v[14:15]
	v_add_f64 v[39:40], v[2:3], v[4:5]
	v_add_f64 v[62:63], v[4:5], -v[12:13]
	v_add_f64 v[26:27], v[60:61], v[66:67]
	v_fma_f64 v[37:38], v[68:69], s[12:13], v[70:71]
	v_fma_f64 v[0:1], v[22:23], -0.5, v[0:1]
	v_fma_f64 v[2:3], v[30:31], -0.5, v[2:3]
	v_add_f64 v[14:15], v[14:15], -v[16:17]
	v_add_f64 v[30:31], v[34:35], v[16:17]
	v_add_f64 v[34:35], v[39:40], v[8:9]
	v_add_f64 v[4:5], v[4:5], -v[8:9]
	v_add_f64 v[8:9], v[12:13], -v[18:19]
	v_fma_f64 v[22:23], v[26:27], s[6:7], v[37:38]
	v_fma_f64 v[16:17], v[62:63], s[10:11], v[0:1]
	v_add_f64 v[37:38], v[10:11], -v[6:7]
	v_fma_f64 v[39:40], v[68:69], s[14:15], v[2:3]
	v_fma_f64 v[32:33], v[54:55], s[14:15], v[32:33]
	;; [unrolled: 1-line block ×4, first 2 shown]
	v_add_f64 v[6:7], v[30:31], v[6:7]
	v_add_f64 v[18:19], v[34:35], v[18:19]
	v_fma_f64 v[16:17], v[52:53], s[4:5], v[16:17]
	v_add_f64 v[14:15], v[14:15], v[37:38]
	v_add_f64 v[30:31], v[4:5], v[8:9]
	v_fma_f64 v[34:35], v[54:55], s[12:13], v[39:40]
	v_fma_f64 v[20:21], v[62:63], s[4:5], v[64:65]
	;; [unrolled: 1-line block ×6, first 2 shown]
	v_add_f64 v[4:5], v[6:7], v[10:11]
	v_add_f64 v[6:7], v[18:19], v[12:13]
	v_fma_f64 v[8:9], v[14:15], s[6:7], v[16:17]
	v_fma_f64 v[10:11], v[30:31], s[6:7], v[34:35]
	;; [unrolled: 1-line block ×7, first 2 shown]
	v_mul_u32_u24_e32 v16, 0x320, v50
	v_lshlrev_b32_e32 v17, 4, v51
	v_add3_u32 v16, 0, v16, v17
	ds_write_b128 v16, v[4:7]
	ds_write_b128 v16, v[8:11] offset:160
	ds_write_b128 v16, v[20:23] offset:320
	;; [unrolled: 1-line block ×4, first 2 shown]
	v_mov_b32_e32 v0, 41
	v_mul_lo_u16_sdwa v0, v84, v0 dst_sel:DWORD dst_unused:UNUSED_PAD src0_sel:BYTE_0 src1_sel:DWORD
	v_lshrrev_b16_e32 v30, 11, v0
	v_mul_lo_u16_e32 v0, 50, v30
	v_sub_u16_e32 v31, v84, v0
	v_mov_b32_e32 v0, 5
	v_lshlrev_b32_sdwa v0, v0, v31 dst_sel:DWORD dst_unused:UNUSED_PAD src0_sel:DWORD src1_sel:BYTE_0
	s_waitcnt lgkmcnt(0)
	s_barrier
	global_load_dwordx4 v[32:35], v0, s[8:9] offset:640
	global_load_dwordx4 v[41:44], v0, s[8:9] offset:656
	v_lshrrev_b16_e32 v0, 1, v88
	v_mul_u32_u24_e32 v0, 0x147b, v0
	v_lshrrev_b32_e32 v29, 17, v0
	v_mul_lo_u16_e32 v0, 50, v29
	v_sub_u16_e32 v28, v88, v0
	v_lshlrev_b32_e32 v0, 5, v28
	global_load_dwordx4 v[50:53], v0, s[8:9] offset:640
	global_load_dwordx4 v[60:63], v0, s[8:9] offset:656
	v_lshrrev_b16_e32 v12, 1, v97
	v_mul_u32_u24_e32 v0, 0x147b, v12
	v_lshrrev_b32_e32 v27, 17, v0
	v_mul_lo_u16_e32 v0, 50, v27
	v_sub_u16_e32 v26, v97, v0
	v_lshlrev_b32_e32 v0, 5, v26
	v_lshrrev_b16_e32 v13, 1, v96
	global_load_dwordx4 v[64:67], v0, s[8:9] offset:640
	global_load_dwordx4 v[68:71], v0, s[8:9] offset:656
	v_mul_u32_u24_e32 v0, 0x147b, v13
	v_lshrrev_b32_e32 v25, 17, v0
	v_mul_lo_u16_e32 v0, 50, v25
	v_sub_u16_e32 v24, v96, v0
	v_lshlrev_b32_e32 v4, 5, v24
	v_lshrrev_b16_e32 v14, 1, v95
	global_load_dwordx4 v[72:75], v4, s[8:9] offset:640
	global_load_dwordx4 v[0:3], v4, s[8:9] offset:656
	v_mul_u32_u24_e32 v4, 0x147b, v14
	v_lshrrev_b32_e32 v21, 17, v4
	v_mul_lo_u16_e32 v4, 50, v21
	v_sub_u16_e32 v20, v95, v4
	v_lshlrev_b32_e32 v15, 5, v20
	global_load_dwordx4 v[4:7], v15, s[8:9] offset:640
	global_load_dwordx4 v[8:11], v15, s[8:9] offset:656
	v_lshrrev_b16_e32 v15, 1, v94
	v_mul_u32_u24_e32 v16, 0x147b, v15
	v_lshrrev_b32_e32 v23, 17, v16
	v_mul_lo_u16_e32 v16, 50, v23
	v_sub_u16_e32 v22, v94, v16
	v_lshlrev_b32_e32 v16, 5, v22
	global_load_dwordx4 v[100:103], v16, s[8:9] offset:640
	global_load_dwordx4 v[104:107], v16, s[8:9] offset:656
	v_lshrrev_b16_e32 v16, 1, v93
	v_mul_u32_u24_e32 v17, 0x147b, v16
	v_lshrrev_b32_e32 v39, 17, v17
	v_mul_lo_u16_e32 v17, 50, v39
	v_sub_u16_e32 v40, v93, v17
	v_lshlrev_b32_e32 v17, 5, v40
	ds_read_b128 v[76:79], v99 offset:21600
	ds_read_b128 v[80:83], v99
	global_load_dwordx4 v[108:111], v17, s[8:9] offset:640
	global_load_dwordx4 v[112:115], v17, s[8:9] offset:656
	v_lshrrev_b16_e32 v17, 1, v92
	v_mul_u32_u24_e32 v37, 0x147b, v17
	v_lshrrev_b32_e32 v37, 17, v37
	v_mul_lo_u16_e32 v38, 50, v37
	v_sub_u16_e32 v38, v92, v38
	v_lshlrev_b32_e32 v45, 5, v38
	global_load_dwordx4 v[120:123], v45, s[8:9] offset:640
	ds_read_b128 v[116:119], v99 offset:43200
	ds_read_b128 v[124:127], v99 offset:45360
	v_lshlrev_b32_sdwa v31, v36, v31 dst_sel:DWORD dst_unused:UNUSED_PAD src0_sel:DWORD src1_sel:BYTE_0
	v_mul_u32_u24_e32 v30, 0x960, v30
	v_add3_u32 v36, 0, v30, v31
	s_mov_b32 s4, 0xe8584caa
	s_mov_b32 s5, 0x3febb67a
	s_mov_b32 s7, 0xbfebb67a
	s_mov_b32 s6, s4
	v_lshlrev_b32_e32 v28, 4, v28
	v_lshlrev_b32_e32 v26, 4, v26
	v_lshlrev_b32_e32 v24, 4, v24
	v_mul_u32_u24_e32 v21, 0x960, v21
	v_lshlrev_b32_e32 v20, 4, v20
	v_mul_u32_u24_e32 v23, 0x960, v23
	v_lshlrev_b32_e32 v22, 4, v22
	v_mul_u32_u24_e32 v12, 0xda75, v12
	v_mul_u32_u24_e32 v16, 0xda75, v16
	s_movk_i32 s10, 0x1b80
	s_movk_i32 s11, 0x1000
	s_mov_b32 s13, 0x91a3
	s_movk_i32 s12, 0x1c2
	s_waitcnt vmcnt(14) lgkmcnt(3)
	v_mul_f64 v[18:19], v[78:79], v[34:35]
	v_mul_f64 v[34:35], v[76:77], v[34:35]
	s_waitcnt vmcnt(13) lgkmcnt(1)
	v_mul_f64 v[144:145], v[118:119], v[43:44]
	v_mul_f64 v[43:44], v[116:117], v[43:44]
	v_fma_f64 v[152:153], v[76:77], v[32:33], -v[18:19]
	v_lshrrev_b16_e32 v18, 1, v91
	v_mul_u32_u24_e32 v19, 0x147b, v18
	v_fma_f64 v[154:155], v[78:79], v[32:33], v[34:35]
	ds_read_b128 v[76:79], v99 offset:23760
	ds_read_b128 v[128:131], v99 offset:25920
	v_lshrrev_b32_e32 v35, 17, v19
	v_mul_lo_u16_e32 v19, 50, v35
	v_sub_u16_e32 v34, v91, v19
	v_lshlrev_b32_e32 v19, 5, v34
	global_load_dwordx4 v[132:135], v45, s[8:9] offset:656
	global_load_dwordx4 v[136:139], v19, s[8:9] offset:640
	s_waitcnt vmcnt(14) lgkmcnt(1)
	v_mul_f64 v[146:147], v[78:79], v[52:53]
	v_mul_f64 v[148:149], v[76:77], v[52:53]
	global_load_dwordx4 v[52:55], v19, s[8:9] offset:656
	v_lshrrev_b16_e32 v19, 1, v90
	v_mul_u32_u24_e32 v32, 0x147b, v19
	v_lshrrev_b32_e32 v32, 17, v32
	v_mul_lo_u16_e32 v33, 50, v32
	v_sub_u16_e32 v33, v90, v33
	v_lshlrev_b32_e32 v45, 5, v33
	global_load_dwordx4 v[140:143], v45, s[8:9] offset:640
	v_fma_f64 v[156:157], v[116:117], v[41:42], -v[144:145]
	v_fma_f64 v[158:159], v[118:119], v[41:42], v[43:44]
	global_load_dwordx4 v[41:44], v45, s[8:9] offset:656
	s_waitcnt vmcnt(16)
	v_mul_f64 v[160:161], v[126:127], v[62:63]
	v_fma_f64 v[162:163], v[76:77], v[50:51], -v[146:147]
	v_fma_f64 v[164:165], v[78:79], v[50:51], v[148:149]
	v_mul_f64 v[50:51], v[124:125], v[62:63]
	ds_read_b128 v[76:79], v99 offset:47520
	s_waitcnt vmcnt(15) lgkmcnt(1)
	v_mul_f64 v[62:63], v[130:131], v[66:67]
	v_mul_f64 v[66:67], v[128:129], v[66:67]
	ds_read_b128 v[116:119], v99 offset:28080
	ds_read_b128 v[144:147], v99 offset:49680
	;; [unrolled: 1-line block ×3, first 2 shown]
	s_waitcnt vmcnt(14) lgkmcnt(3)
	v_mul_f64 v[166:167], v[78:79], v[70:71]
	v_mul_f64 v[70:71], v[76:77], v[70:71]
	v_fma_f64 v[124:125], v[124:125], v[60:61], -v[160:161]
	v_fma_f64 v[126:127], v[126:127], v[60:61], v[50:51]
	v_fma_f64 v[128:129], v[128:129], v[64:65], -v[62:63]
	ds_read_b128 v[60:63], v99 offset:51840
	s_waitcnt vmcnt(13) lgkmcnt(3)
	v_mul_f64 v[168:169], v[118:119], v[74:75]
	v_mul_f64 v[74:75], v[116:117], v[74:75]
	v_fma_f64 v[160:161], v[76:77], v[68:69], -v[166:167]
	v_fma_f64 v[166:167], v[78:79], v[68:69], v[70:71]
	s_waitcnt vmcnt(12) lgkmcnt(2)
	v_mul_f64 v[50:51], v[146:147], v[2:3]
	v_mul_f64 v[2:3], v[144:145], v[2:3]
	s_waitcnt vmcnt(11) lgkmcnt(1)
	v_mul_f64 v[76:77], v[150:151], v[6:7]
	v_mul_f64 v[6:7], v[148:149], v[6:7]
	;; [unrolled: 3-line block ×3, first 2 shown]
	v_fma_f64 v[130:131], v[130:131], v[64:65], v[66:67]
	ds_read_b128 v[64:67], v99 offset:32400
	ds_read_b128 v[68:71], v99 offset:54000
	v_fma_f64 v[116:117], v[116:117], v[72:73], -v[168:169]
	v_fma_f64 v[118:119], v[118:119], v[72:73], v[74:75]
	ds_read_b128 v[72:75], v58
	s_waitcnt vmcnt(9) lgkmcnt(2)
	v_mul_f64 v[168:169], v[66:67], v[102:103]
	v_fma_f64 v[144:145], v[144:145], v[0:1], -v[50:51]
	v_fma_f64 v[146:147], v[146:147], v[0:1], v[2:3]
	ds_read_b128 v[0:3], v99 offset:34560
	v_fma_f64 v[148:149], v[148:149], v[4:5], -v[76:77]
	v_fma_f64 v[150:151], v[150:151], v[4:5], v[6:7]
	v_fma_f64 v[170:171], v[60:61], v[8:9], -v[78:79]
	v_fma_f64 v[172:173], v[62:63], v[8:9], v[10:11]
	ds_read_b128 v[4:7], v99 offset:56160
	ds_read_b128 v[8:11], v99 offset:36720
	v_mul_f64 v[50:51], v[64:65], v[102:103]
	v_fma_f64 v[168:169], v[64:65], v[100:101], -v[168:169]
	s_waitcnt vmcnt(8) lgkmcnt(4)
	v_mul_f64 v[64:65], v[70:71], v[106:107]
	v_mul_f64 v[76:77], v[68:69], v[106:107]
	s_waitcnt vmcnt(7) lgkmcnt(2)
	v_mul_f64 v[78:79], v[2:3], v[110:111]
	v_mul_f64 v[102:103], v[0:1], v[110:111]
	;; [unrolled: 3-line block ×3, first 2 shown]
	s_waitcnt vmcnt(5) lgkmcnt(0)
	v_mul_f64 v[114:115], v[10:11], v[122:123]
	ds_read_b128 v[60:63], v99 offset:58320
	v_fma_f64 v[174:175], v[66:67], v[100:101], v[50:51]
	v_fma_f64 v[176:177], v[68:69], v[104:105], -v[64:65]
	v_fma_f64 v[180:181], v[0:1], v[108:109], -v[78:79]
	v_fma_f64 v[108:109], v[2:3], v[108:109], v[102:103]
	ds_read_b128 v[0:3], v99 offset:38880
	v_fma_f64 v[182:183], v[4:5], v[112:113], -v[106:107]
	v_fma_f64 v[110:111], v[6:7], v[112:113], v[110:111]
	v_fma_f64 v[112:113], v[8:9], v[120:121], -v[114:115]
	v_mul_f64 v[8:9], v[8:9], v[122:123]
	ds_read_b128 v[4:7], v99 offset:60480
	ds_read_b128 v[64:67], v99 offset:41040
	v_fma_f64 v[178:179], v[70:71], v[104:105], v[76:77]
	ds_read_b128 v[68:71], v99 offset:62640
	v_add_f64 v[30:31], v[162:163], v[124:125]
	s_waitcnt vmcnt(4) lgkmcnt(4)
	v_mul_f64 v[50:51], v[62:63], v[134:135]
	v_mul_f64 v[76:77], v[60:61], v[134:135]
	s_waitcnt vmcnt(3) lgkmcnt(3)
	v_mul_f64 v[78:79], v[2:3], v[138:139]
	v_mul_f64 v[100:101], v[0:1], v[138:139]
	s_waitcnt vmcnt(2) lgkmcnt(2)
	v_mul_f64 v[102:103], v[6:7], v[54:55]
	v_fma_f64 v[114:115], v[10:11], v[120:121], v[8:9]
	v_mul_f64 v[8:9], v[4:5], v[54:55]
	v_add_f64 v[10:11], v[154:155], v[158:159]
	v_fma_f64 v[54:55], v[60:61], v[132:133], -v[50:51]
	v_fma_f64 v[120:121], v[62:63], v[132:133], v[76:77]
	v_fma_f64 v[122:123], v[0:1], v[136:137], -v[78:79]
	v_fma_f64 v[132:133], v[2:3], v[136:137], v[100:101]
	s_waitcnt vmcnt(1) lgkmcnt(1)
	v_mul_f64 v[0:1], v[66:67], v[142:143]
	v_fma_f64 v[134:135], v[4:5], v[52:53], -v[102:103]
	v_fma_f64 v[136:137], v[6:7], v[52:53], v[8:9]
	s_waitcnt vmcnt(0) lgkmcnt(0)
	v_mul_f64 v[4:5], v[70:71], v[43:44]
	v_mul_f64 v[6:7], v[68:69], v[43:44]
	v_add_f64 v[8:9], v[152:153], v[156:157]
	v_mul_f64 v[2:3], v[64:65], v[142:143]
	v_add_f64 v[43:44], v[80:81], v[152:153]
	v_fma_f64 v[138:139], v[64:65], v[140:141], -v[0:1]
	v_add_f64 v[0:1], v[82:83], v[154:155]
	v_fma_f64 v[10:11], v[10:11], -0.5, v[82:83]
	v_fma_f64 v[142:143], v[68:69], v[41:42], -v[4:5]
	v_fma_f64 v[184:185], v[70:71], v[41:42], v[6:7]
	v_fma_f64 v[6:7], v[8:9], -0.5, v[80:81]
	v_add_f64 v[8:9], v[154:155], -v[158:159]
	v_add_f64 v[41:42], v[152:153], -v[156:157]
	v_fma_f64 v[140:141], v[66:67], v[140:141], v[2:3]
	v_add_f64 v[2:3], v[0:1], v[158:159]
	v_add_f64 v[0:1], v[43:44], v[156:157]
	;; [unrolled: 1-line block ×3, first 2 shown]
	v_add_f64 v[156:157], v[164:165], -v[126:127]
	v_lshl_add_u32 v52, v92, 4, 0
	v_fma_f64 v[4:5], v[8:9], s[4:5], v[6:7]
	v_fma_f64 v[8:9], v[8:9], s[6:7], v[6:7]
	;; [unrolled: 1-line block ×4, first 2 shown]
	ds_read_b128 v[41:44], v49
	ds_read_b128 v[60:63], v48
	;; [unrolled: 1-line block ×4, first 2 shown]
	v_lshl_add_u32 v51, v91, 4, 0
	s_waitcnt lgkmcnt(3)
	v_fma_f64 v[30:31], v[30:31], -0.5, v[41:42]
	v_lshl_add_u32 v50, v90, 4, 0
	ds_read_b128 v[76:79], v46
	ds_read_b128 v[80:83], v52
	;; [unrolled: 1-line block ×4, first 2 shown]
	s_waitcnt lgkmcnt(0)
	s_barrier
	v_add_f64 v[154:155], v[43:44], v[164:165]
	v_add_f64 v[41:42], v[41:42], v[162:163]
	ds_write_b128 v36, v[0:3]
	v_fma_f64 v[43:44], v[152:153], -0.5, v[43:44]
	v_add_f64 v[152:153], v[162:163], -v[124:125]
	ds_write_b128 v36, v[4:7] offset:800
	ds_write_b128 v36, v[8:11] offset:1600
	v_fma_f64 v[4:5], v[156:157], s[4:5], v[30:31]
	v_fma_f64 v[8:9], v[156:157], s[6:7], v[30:31]
	v_mul_u32_u24_e32 v31, 0x960, v29
	v_add_f64 v[29:30], v[130:131], v[166:167]
	v_add_f64 v[2:3], v[154:155], v[126:127]
	;; [unrolled: 1-line block ×4, first 2 shown]
	v_fma_f64 v[6:7], v[152:153], s[6:7], v[43:44]
	v_add3_u32 v36, 0, v31, v28
	v_fma_f64 v[10:11], v[152:153], s[4:5], v[43:44]
	v_add_f64 v[43:44], v[62:63], v[130:131]
	v_fma_f64 v[28:29], v[29:30], -0.5, v[62:63]
	v_add_f64 v[30:31], v[128:129], -v[160:161]
	v_add_f64 v[124:125], v[130:131], -v[166:167]
	v_fma_f64 v[41:42], v[41:42], -0.5, v[60:61]
	v_add_f64 v[60:61], v[60:61], v[128:129]
	ds_write_b128 v36, v[0:3]
	ds_write_b128 v36, v[4:7] offset:800
	ds_write_b128 v36, v[8:11] offset:1600
	v_add_f64 v[2:3], v[43:44], v[166:167]
	v_add_f64 v[43:44], v[116:117], v[144:145]
	v_fma_f64 v[6:7], v[30:31], s[6:7], v[28:29]
	v_fma_f64 v[10:11], v[30:31], s[4:5], v[28:29]
	v_mul_u32_u24_e32 v29, 0x960, v27
	v_add_f64 v[27:28], v[118:119], v[146:147]
	v_add_f64 v[0:1], v[60:61], v[160:161]
	v_fma_f64 v[4:5], v[124:125], s[4:5], v[41:42]
	v_add3_u32 v31, 0, v29, v26
	v_add_f64 v[62:63], v[116:117], -v[144:145]
	v_fma_f64 v[8:9], v[124:125], s[6:7], v[41:42]
	v_fma_f64 v[29:30], v[43:44], -0.5, v[64:65]
	v_add_f64 v[41:42], v[66:67], v[118:119]
	v_fma_f64 v[26:27], v[27:28], -0.5, v[66:67]
	v_add_f64 v[43:44], v[64:65], v[116:117]
	v_add_f64 v[60:61], v[118:119], -v[146:147]
	ds_write_b128 v31, v[0:3]
	ds_write_b128 v31, v[4:7] offset:800
	ds_write_b128 v31, v[8:11] offset:1600
	v_add3_u32 v36, 0, v21, v20
	v_mov_b32_e32 v53, s9
	v_add_f64 v[2:3], v[41:42], v[146:147]
	v_fma_f64 v[6:7], v[62:63], s[6:7], v[26:27]
	v_fma_f64 v[10:11], v[62:63], s[4:5], v[26:27]
	v_mul_u32_u24_e32 v27, 0x960, v25
	v_add_f64 v[25:26], v[150:151], v[172:173]
	v_add_f64 v[0:1], v[43:44], v[144:145]
	v_fma_f64 v[4:5], v[60:61], s[4:5], v[29:30]
	v_add_f64 v[41:42], v[148:149], v[170:171]
	v_fma_f64 v[8:9], v[60:61], s[6:7], v[29:30]
	v_add_f64 v[29:30], v[70:71], v[150:151]
	v_add3_u32 v31, 0, v27, v24
	v_add_f64 v[60:61], v[148:149], -v[170:171]
	v_fma_f64 v[24:25], v[25:26], -0.5, v[70:71]
	v_add_f64 v[43:44], v[150:151], -v[172:173]
	ds_write_b128 v31, v[0:3]
	v_fma_f64 v[27:28], v[41:42], -0.5, v[68:69]
	v_add_f64 v[41:42], v[68:69], v[148:149]
	v_add_f64 v[2:3], v[29:30], v[172:173]
	v_add_f64 v[29:30], v[168:169], v[176:177]
	ds_write_b128 v31, v[4:7] offset:800
	ds_write_b128 v31, v[8:11] offset:1600
	v_fma_f64 v[6:7], v[60:61], s[6:7], v[24:25]
	v_fma_f64 v[10:11], v[60:61], s[4:5], v[24:25]
	v_add_f64 v[24:25], v[174:175], v[178:179]
	v_fma_f64 v[4:5], v[43:44], s[4:5], v[27:28]
	v_add_f64 v[0:1], v[41:42], v[170:171]
	v_fma_f64 v[8:9], v[43:44], s[6:7], v[27:28]
	v_fma_f64 v[20:21], v[29:30], -0.5, v[76:77]
	v_add_f64 v[26:27], v[78:79], v[174:175]
	v_add_f64 v[30:31], v[174:175], -v[178:179]
	v_add_f64 v[28:29], v[76:77], v[168:169]
	v_fma_f64 v[24:25], v[24:25], -0.5, v[78:79]
	v_add_f64 v[41:42], v[168:169], -v[176:177]
	ds_write_b128 v36, v[0:3]
	ds_write_b128 v36, v[4:7] offset:800
	ds_write_b128 v36, v[8:11] offset:1600
	v_add3_u32 v36, 0, v23, v22
	v_add_f64 v[2:3], v[26:27], v[178:179]
	v_fma_f64 v[4:5], v[30:31], s[4:5], v[20:21]
	v_add_f64 v[26:27], v[180:181], v[182:183]
	v_fma_f64 v[8:9], v[30:31], s[6:7], v[20:21]
	v_add_f64 v[20:21], v[108:109], v[110:111]
	v_add_f64 v[0:1], v[28:29], v[176:177]
	v_fma_f64 v[6:7], v[41:42], s[6:7], v[24:25]
	v_fma_f64 v[10:11], v[41:42], s[4:5], v[24:25]
	v_add_f64 v[24:25], v[74:75], v[108:109]
	v_add_f64 v[28:29], v[108:109], -v[110:111]
	v_fma_f64 v[22:23], v[26:27], -0.5, v[72:73]
	v_add_f64 v[30:31], v[180:181], -v[182:183]
	v_fma_f64 v[20:21], v[20:21], -0.5, v[74:75]
	v_add_f64 v[26:27], v[72:73], v[180:181]
	ds_write_b128 v36, v[0:3]
	ds_write_b128 v36, v[4:7] offset:800
	ds_write_b128 v36, v[8:11] offset:1600
	v_add_f64 v[2:3], v[24:25], v[110:111]
	v_add_f64 v[24:25], v[112:113], v[54:55]
	v_fma_f64 v[4:5], v[28:29], s[4:5], v[22:23]
	v_fma_f64 v[8:9], v[28:29], s[6:7], v[22:23]
	;; [unrolled: 1-line block ×4, first 2 shown]
	v_add_f64 v[20:21], v[114:115], v[120:121]
	v_mul_u32_u24_e32 v22, 0x960, v39
	v_lshlrev_b32_e32 v23, 4, v40
	v_add_f64 v[0:1], v[26:27], v[182:183]
	v_add3_u32 v36, 0, v22, v23
	v_fma_f64 v[22:23], v[24:25], -0.5, v[80:81]
	v_add_f64 v[28:29], v[114:115], -v[120:121]
	v_add_f64 v[24:25], v[82:83], v[114:115]
	v_add_f64 v[26:27], v[80:81], v[112:113]
	v_fma_f64 v[20:21], v[20:21], -0.5, v[82:83]
	v_add_f64 v[30:31], v[112:113], -v[54:55]
	ds_write_b128 v36, v[0:3]
	ds_write_b128 v36, v[4:7] offset:800
	ds_write_b128 v36, v[8:11] offset:1600
	v_lshrrev_b32_e32 v65, 22, v12
	v_mul_lo_u16_e32 v12, 0x96, v65
	v_fma_f64 v[4:5], v[28:29], s[4:5], v[22:23]
	v_fma_f64 v[8:9], v[28:29], s[6:7], v[22:23]
	v_add_f64 v[22:23], v[122:123], v[134:135]
	v_add_f64 v[2:3], v[24:25], v[120:121]
	;; [unrolled: 1-line block ×3, first 2 shown]
	v_fma_f64 v[6:7], v[30:31], s[6:7], v[20:21]
	v_fma_f64 v[10:11], v[30:31], s[4:5], v[20:21]
	v_add_f64 v[20:21], v[132:133], v[136:137]
	v_add_f64 v[26:27], v[132:133], -v[136:137]
	v_mul_u32_u24_e32 v24, 0x960, v37
	v_fma_f64 v[22:23], v[22:23], -0.5, v[100:101]
	v_lshlrev_b32_e32 v25, 4, v38
	v_add3_u32 v30, 0, v24, v25
	ds_write_b128 v30, v[0:3]
	v_add_f64 v[0:1], v[102:103], v[132:133]
	v_add_f64 v[24:25], v[100:101], v[122:123]
	v_fma_f64 v[20:21], v[20:21], -0.5, v[102:103]
	v_add_f64 v[28:29], v[122:123], -v[134:135]
	ds_write_b128 v30, v[4:7] offset:800
	ds_write_b128 v30, v[8:11] offset:1600
	v_add_f64 v[30:31], v[138:139], v[142:143]
	v_fma_f64 v[4:5], v[26:27], s[4:5], v[22:23]
	v_fma_f64 v[8:9], v[26:27], s[6:7], v[22:23]
	v_add_f64 v[22:23], v[140:141], v[184:185]
	v_add_f64 v[2:3], v[0:1], v[136:137]
	;; [unrolled: 1-line block ×3, first 2 shown]
	v_fma_f64 v[6:7], v[28:29], s[6:7], v[20:21]
	v_fma_f64 v[10:11], v[28:29], s[4:5], v[20:21]
	v_add_f64 v[20:21], v[106:107], v[140:141]
	v_add_f64 v[26:27], v[104:105], v[138:139]
	v_mul_u32_u24_e32 v37, 0x960, v35
	v_fma_f64 v[24:25], v[30:31], -0.5, v[104:105]
	v_add_f64 v[28:29], v[140:141], -v[184:185]
	v_fma_f64 v[30:31], v[22:23], -0.5, v[106:107]
	v_add_f64 v[35:36], v[138:139], -v[142:143]
	v_lshlrev_b32_e32 v22, 4, v34
	v_add3_u32 v34, 0, v37, v22
	ds_write_b128 v34, v[0:3]
	v_add_f64 v[2:3], v[20:21], v[184:185]
	v_add_f64 v[0:1], v[26:27], v[142:143]
	v_fma_f64 v[20:21], v[28:29], s[4:5], v[24:25]
	v_fma_f64 v[24:25], v[28:29], s[6:7], v[24:25]
	;; [unrolled: 1-line block ×4, first 2 shown]
	ds_write_b128 v34, v[4:7] offset:800
	ds_write_b128 v34, v[8:11] offset:1600
	v_mul_u32_u24_e32 v4, 0x960, v32
	v_lshlrev_b32_e32 v5, 4, v33
	v_add3_u32 v4, 0, v4, v5
	v_lshlrev_b32_e32 v28, 1, v84
	v_mov_b32_e32 v29, 0
	ds_write_b128 v4, v[0:3]
	ds_write_b128 v4, v[20:23] offset:800
	ds_write_b128 v4, v[24:27] offset:1600
	v_lshlrev_b64 v[0:1], 4, v[28:29]
	s_waitcnt lgkmcnt(0)
	v_add_co_u32_e32 v30, vcc, s8, v0
	v_addc_co_u32_e32 v31, vcc, v53, v1, vcc
	s_barrier
	global_load_dwordx4 v[0:3], v[30:31], off offset:2240
	global_load_dwordx4 v[4:7], v[30:31], off offset:2256
	v_add_u32_e32 v8, -15, v84
	v_cmp_gt_u32_e32 vcc, 15, v84
	v_cndmask_b32_e32 v66, v8, v88, vcc
	v_lshlrev_b32_e32 v8, 1, v66
	v_mov_b32_e32 v9, v29
	v_lshlrev_b64 v[8:9], 4, v[8:9]
	v_sub_u16_e32 v64, v97, v12
	v_add_co_u32_e32 v24, vcc, s8, v8
	v_addc_co_u32_e32 v25, vcc, v53, v9, vcc
	global_load_dwordx4 v[8:11], v[24:25], off offset:2240
	global_load_dwordx4 v[20:23], v[24:25], off offset:2256
	v_lshlrev_b32_e32 v12, 5, v64
	global_load_dwordx4 v[24:27], v12, s[8:9] offset:2240
	global_load_dwordx4 v[32:35], v12, s[8:9] offset:2256
	v_mul_u32_u24_e32 v12, 0xda75, v13
	v_lshrrev_b32_e32 v62, 22, v12
	v_mul_lo_u16_e32 v12, 0x96, v62
	v_sub_u16_e32 v63, v96, v12
	v_lshlrev_b32_e32 v12, 5, v63
	global_load_dwordx4 v[36:39], v12, s[8:9] offset:2240
	global_load_dwordx4 v[40:43], v12, s[8:9] offset:2256
	v_mul_u32_u24_e32 v12, 0xda75, v14
	v_lshrrev_b32_e32 v55, 22, v12
	v_mul_lo_u16_e32 v12, 0x96, v55
	v_sub_u16_e32 v54, v95, v12
	;; [unrolled: 7-line block ×3, first 2 shown]
	v_lshlrev_b32_e32 v67, 5, v60
	global_load_dwordx4 v[12:15], v67, s[8:9] offset:2240
	v_lshrrev_b32_e32 v72, 22, v16
	v_mul_lo_u16_e32 v16, 0x96, v72
	v_sub_u16_e32 v73, v93, v16
	v_lshlrev_b32_e32 v16, 5, v73
	ds_read_b128 v[100:103], v99 offset:21600
	ds_read_b128 v[104:107], v99
	global_load_dwordx4 v[108:111], v67, s[8:9] offset:2256
	global_load_dwordx4 v[112:115], v16, s[8:9] offset:2240
	;; [unrolled: 1-line block ×3, first 2 shown]
	v_mul_u32_u24_e32 v16, 0xda75, v17
	v_lshrrev_b32_e32 v71, 22, v16
	v_mul_lo_u16_e32 v16, 0x96, v71
	v_sub_u16_e32 v70, v92, v16
	v_lshlrev_b32_e32 v16, 5, v70
	ds_read_b128 v[120:123], v99 offset:43200
	ds_read_b128 v[128:131], v99 offset:45360
	global_load_dwordx4 v[124:127], v16, s[8:9] offset:2240
	ds_read_b128 v[132:135], v99 offset:23760
	ds_read_b128 v[136:139], v99 offset:25920
	global_load_dwordx4 v[140:143], v16, s[8:9] offset:2256
	v_mul_u32_u24_e32 v16, 0xda75, v18
	v_lshrrev_b32_e32 v68, 22, v16
	v_mul_lo_u16_e32 v16, 0x96, v68
	v_sub_u16_e32 v69, v91, v16
	v_lshlrev_b32_e32 v16, 5, v69
	global_load_dwordx4 v[144:147], v16, s[8:9] offset:2240
	global_load_dwordx4 v[148:151], v16, s[8:9] offset:2256
	v_mul_u32_u24_e32 v16, 0xda75, v19
	v_lshrrev_b32_e32 v16, 22, v16
	v_mul_lo_u16_e32 v16, 0x96, v16
	v_sub_u16_e32 v67, v90, v16
	v_lshlrev_b32_e32 v89, 5, v67
	global_load_dwordx4 v[16:19], v89, s[8:9] offset:2240
	v_cmp_lt_u32_e32 vcc, 14, v84
	v_lshlrev_b32_e32 v66, 4, v66
	v_lshlrev_b32_e32 v64, 4, v64
	v_mul_u32_u24_e32 v62, 0x1c20, v62
	v_lshlrev_b32_e32 v63, 4, v63
	v_mul_u32_u24_e32 v55, 0x1c20, v55
	;; [unrolled: 2-line block ×3, first 2 shown]
	v_lshlrev_b32_e32 v60, 4, v60
	s_waitcnt vmcnt(18) lgkmcnt(5)
	v_mul_f64 v[44:45], v[102:103], v[2:3]
	v_mul_f64 v[2:3], v[100:101], v[2:3]
	s_waitcnt vmcnt(17) lgkmcnt(3)
	v_mul_f64 v[82:83], v[122:123], v[6:7]
	v_mul_f64 v[6:7], v[120:121], v[6:7]
	v_fma_f64 v[152:153], v[100:101], v[0:1], -v[44:45]
	v_fma_f64 v[154:155], v[102:103], v[0:1], v[2:3]
	global_load_dwordx4 v[0:3], v89, s[8:9] offset:2256
	v_fma_f64 v[82:83], v[120:121], v[4:5], -v[82:83]
	s_waitcnt vmcnt(17) lgkmcnt(1)
	v_mul_f64 v[44:45], v[134:135], v[10:11]
	v_mul_f64 v[10:11], v[132:133], v[10:11]
	v_fma_f64 v[156:157], v[122:123], v[4:5], v[6:7]
	ds_read_b128 v[4:7], v99 offset:47520
	s_waitcnt vmcnt(16)
	v_mul_f64 v[158:159], v[130:131], v[22:23]
	v_mul_f64 v[22:23], v[128:129], v[22:23]
	v_fma_f64 v[132:133], v[132:133], v[8:9], -v[44:45]
	v_fma_f64 v[134:135], v[134:135], v[8:9], v[10:11]
	ds_read_b128 v[8:11], v99 offset:28080
	ds_read_b128 v[100:103], v99 offset:49680
	s_waitcnt vmcnt(15) lgkmcnt(3)
	v_mul_f64 v[44:45], v[138:139], v[26:27]
	s_waitcnt vmcnt(14) lgkmcnt(2)
	v_mul_f64 v[160:161], v[6:7], v[34:35]
	v_mul_f64 v[34:35], v[4:5], v[34:35]
	s_waitcnt vmcnt(13) lgkmcnt(1)
	v_mul_f64 v[162:163], v[10:11], v[38:39]
	v_mul_f64 v[38:39], v[8:9], v[38:39]
	ds_read_b128 v[120:123], v99 offset:30240
	v_mul_f64 v[26:27], v[136:137], v[26:27]
	v_fma_f64 v[128:129], v[128:129], v[20:21], -v[158:159]
	v_fma_f64 v[136:137], v[136:137], v[24:25], -v[44:45]
	;; [unrolled: 1-line block ×3, first 2 shown]
	v_fma_f64 v[160:161], v[6:7], v[32:33], v[34:35]
	v_fma_f64 v[162:163], v[8:9], v[36:37], -v[162:163]
	v_fma_f64 v[164:165], v[10:11], v[36:37], v[38:39]
	ds_read_b128 v[8:11], v99 offset:51840
	s_waitcnt vmcnt(12) lgkmcnt(2)
	v_mul_f64 v[32:33], v[102:103], v[42:43]
	v_mul_f64 v[34:35], v[100:101], v[42:43]
	v_fma_f64 v[130:131], v[130:131], v[20:21], v[22:23]
	v_fma_f64 v[138:139], v[138:139], v[24:25], v[26:27]
	s_waitcnt vmcnt(10) lgkmcnt(0)
	v_mul_f64 v[42:43], v[10:11], v[80:81]
	v_mul_f64 v[44:45], v[8:9], v[80:81]
	ds_read_b128 v[20:23], v99 offset:32400
	ds_read_b128 v[24:27], v99 offset:54000
	ds_read_b128 v[4:7], v58
	v_mul_f64 v[36:37], v[122:123], v[76:77]
	v_mul_f64 v[38:39], v[120:121], v[76:77]
	s_waitcnt vmcnt(9) lgkmcnt(2)
	v_mul_f64 v[76:77], v[22:23], v[14:15]
	v_mul_f64 v[14:15], v[20:21], v[14:15]
	v_fma_f64 v[174:175], v[8:9], v[78:79], -v[42:43]
	v_fma_f64 v[176:177], v[10:11], v[78:79], v[44:45]
	ds_read_b128 v[8:11], v99 offset:34560
	v_fma_f64 v[166:167], v[100:101], v[40:41], -v[32:33]
	v_fma_f64 v[168:169], v[102:103], v[40:41], v[34:35]
	v_fma_f64 v[170:171], v[120:121], v[74:75], -v[36:37]
	v_fma_f64 v[172:173], v[122:123], v[74:75], v[38:39]
	s_waitcnt vmcnt(7) lgkmcnt(0)
	v_mul_f64 v[42:43], v[10:11], v[114:115]
	v_mul_f64 v[44:45], v[8:9], v[114:115]
	ds_read_b128 v[32:35], v99 offset:56160
	ds_read_b128 v[36:39], v99 offset:36720
	v_fma_f64 v[178:179], v[20:21], v[12:13], -v[76:77]
	v_mul_f64 v[20:21], v[26:27], v[110:111]
	v_mul_f64 v[40:41], v[24:25], v[110:111]
	ds_read_b128 v[74:77], v99 offset:58320
	s_waitcnt vmcnt(6) lgkmcnt(2)
	v_mul_f64 v[78:79], v[34:35], v[118:119]
	v_fma_f64 v[42:43], v[8:9], v[112:113], -v[42:43]
	v_fma_f64 v[186:187], v[10:11], v[112:113], v[44:45]
	ds_read_b128 v[8:11], v99 offset:38880
	v_fma_f64 v[180:181], v[22:23], v[12:13], v[14:15]
	s_waitcnt vmcnt(5) lgkmcnt(2)
	v_mul_f64 v[12:13], v[38:39], v[126:127]
	v_mul_f64 v[80:81], v[32:33], v[118:119]
	v_fma_f64 v[182:183], v[24:25], v[108:109], -v[20:21]
	v_fma_f64 v[184:185], v[26:27], v[108:109], v[40:41]
	v_mul_f64 v[24:25], v[36:37], v[126:127]
	s_waitcnt vmcnt(4) lgkmcnt(1)
	v_mul_f64 v[26:27], v[76:77], v[142:143]
	s_waitcnt vmcnt(3) lgkmcnt(0)
	v_mul_f64 v[100:101], v[10:11], v[146:147]
	v_mul_f64 v[102:103], v[8:9], v[146:147]
	v_fma_f64 v[40:41], v[32:33], v[116:117], -v[78:79]
	v_fma_f64 v[32:33], v[36:37], v[124:125], -v[12:13]
	ds_read_b128 v[12:15], v99 offset:41040
	ds_read_b128 v[20:23], v99 offset:60480
	v_fma_f64 v[44:45], v[34:35], v[116:117], v[80:81]
	v_mul_f64 v[36:37], v[74:75], v[142:143]
	v_fma_f64 v[38:39], v[38:39], v[124:125], v[24:25]
	v_fma_f64 v[34:35], v[74:75], v[140:141], -v[26:27]
	v_fma_f64 v[24:25], v[8:9], v[144:145], -v[100:101]
	s_waitcnt vmcnt(1) lgkmcnt(1)
	v_mul_f64 v[8:9], v[14:15], v[18:19]
	v_fma_f64 v[26:27], v[10:11], v[144:145], v[102:103]
	v_mul_f64 v[10:11], v[12:13], v[18:19]
	ds_read_b128 v[78:81], v99 offset:62640
	v_fma_f64 v[36:37], v[76:77], v[140:141], v[36:37]
	v_add_f64 v[76:77], v[152:153], v[82:83]
	v_add_f64 v[100:101], v[104:105], v[152:153]
	s_waitcnt lgkmcnt(1)
	v_mul_f64 v[108:109], v[22:23], v[150:151]
	s_waitcnt vmcnt(0) lgkmcnt(0)
	v_mul_f64 v[74:75], v[80:81], v[2:3]
	v_mul_f64 v[2:3], v[78:79], v[2:3]
	v_fma_f64 v[12:13], v[12:13], v[16:17], -v[8:9]
	v_add_f64 v[8:9], v[154:155], v[156:157]
	v_fma_f64 v[18:19], v[14:15], v[16:17], v[10:11]
	v_add_f64 v[10:11], v[106:107], v[154:155]
	v_mul_f64 v[110:111], v[20:21], v[150:151]
	v_fma_f64 v[20:21], v[20:21], v[148:149], -v[108:109]
	v_fma_f64 v[14:15], v[78:79], v[0:1], -v[74:75]
	v_fma_f64 v[16:17], v[80:81], v[0:1], v[2:3]
	v_fma_f64 v[80:81], v[76:77], -0.5, v[104:105]
	v_fma_f64 v[8:9], v[8:9], -0.5, v[106:107]
	v_add_f64 v[106:107], v[132:133], v[128:129]
	v_add_f64 v[76:77], v[10:11], v[156:157]
	;; [unrolled: 1-line block ×3, first 2 shown]
	v_add_f64 v[104:105], v[154:155], -v[156:157]
	v_add_f64 v[74:75], v[100:101], v[82:83]
	v_add_f64 v[82:83], v[152:153], -v[82:83]
	ds_read_b128 v[0:3], v49
	ds_read_b128 v[100:103], v48
	v_add_f64 v[116:117], v[134:135], -v[130:131]
	v_fma_f64 v[22:23], v[22:23], v[148:149], v[110:111]
	s_waitcnt lgkmcnt(1)
	v_fma_f64 v[114:115], v[106:107], -0.5, v[0:1]
	v_add_f64 v[108:109], v[2:3], v[134:135]
	v_add_f64 v[0:1], v[0:1], v[132:133]
	v_fma_f64 v[2:3], v[10:11], -0.5, v[2:3]
	v_add_f64 v[10:11], v[132:133], -v[128:129]
	v_fma_f64 v[78:79], v[104:105], s[4:5], v[80:81]
	v_fma_f64 v[104:105], v[104:105], s[6:7], v[80:81]
	;; [unrolled: 1-line block ×4, first 2 shown]
	v_add_f64 v[110:111], v[108:109], v[130:131]
	v_add_f64 v[108:109], v[0:1], v[128:129]
	v_fma_f64 v[112:113], v[116:117], s[4:5], v[114:115]
	v_fma_f64 v[116:117], v[116:117], s[6:7], v[114:115]
	;; [unrolled: 1-line block ×4, first 2 shown]
	ds_read_b128 v[120:123], v59
	ds_read_b128 v[124:127], v47
	;; [unrolled: 1-line block ×6, first 2 shown]
	s_waitcnt lgkmcnt(0)
	s_barrier
	ds_write_b128 v99, v[74:77]
	ds_write_b128 v99, v[78:81] offset:2400
	v_add_f64 v[74:75], v[136:137], v[158:159]
	v_mov_b32_e32 v76, 0x1c20
	v_cndmask_b32_e32 v78, 0, v76, vcc
	v_add_f64 v[76:77], v[138:139], v[160:161]
	v_add3_u32 v66, 0, v78, v66
	v_add_f64 v[78:79], v[100:101], v[136:137]
	v_add_f64 v[82:83], v[138:139], -v[160:161]
	ds_write_b128 v99, v[104:107] offset:4800
	v_fma_f64 v[80:81], v[74:75], -0.5, v[100:101]
	v_add_f64 v[74:75], v[102:103], v[138:139]
	ds_write_b128 v66, v[108:111]
	v_fma_f64 v[102:103], v[76:77], -0.5, v[102:103]
	v_add_f64 v[104:105], v[136:137], -v[158:159]
	ds_write_b128 v66, v[112:115] offset:2400
	ds_write_b128 v66, v[116:119] offset:4800
	v_add_f64 v[106:107], v[162:163], v[166:167]
	v_add_f64 v[110:111], v[162:163], -v[166:167]
	v_fma_f64 v[100:101], v[82:83], s[6:7], v[80:81]
	v_add_f64 v[76:77], v[74:75], v[160:161]
	v_add_f64 v[74:75], v[78:79], v[158:159]
	v_fma_f64 v[78:79], v[82:83], s[4:5], v[80:81]
	v_mul_u32_u24_e32 v82, 0x1c20, v65
	v_add_f64 v[65:66], v[164:165], v[168:169]
	v_fma_f64 v[80:81], v[104:105], s[6:7], v[102:103]
	v_fma_f64 v[102:103], v[104:105], s[4:5], v[102:103]
	v_add3_u32 v89, 0, v82, v64
	v_fma_f64 v[82:83], v[106:107], -0.5, v[120:121]
	v_add_f64 v[104:105], v[122:123], v[164:165]
	v_add_f64 v[106:107], v[120:121], v[162:163]
	v_add_f64 v[108:109], v[164:165], -v[168:169]
	v_fma_f64 v[64:65], v[65:66], -0.5, v[122:123]
	ds_write_b128 v89, v[74:77]
	ds_write_b128 v89, v[78:81] offset:2400
	ds_write_b128 v89, v[100:103] offset:4800
	v_add3_u32 v66, 0, v62, v63
	v_add_f64 v[62:63], v[126:127], v[172:173]
	v_add_f64 v[76:77], v[104:105], v[168:169]
	;; [unrolled: 1-line block ×4, first 2 shown]
	v_fma_f64 v[80:81], v[110:111], s[6:7], v[64:65]
	v_fma_f64 v[102:103], v[110:111], s[4:5], v[64:65]
	v_add_f64 v[64:65], v[172:173], v[176:177]
	v_fma_f64 v[78:79], v[108:109], s[4:5], v[82:83]
	v_fma_f64 v[100:101], v[108:109], s[6:7], v[82:83]
	v_add_f64 v[106:107], v[172:173], -v[176:177]
	v_add_f64 v[110:111], v[170:171], -v[174:175]
	v_fma_f64 v[82:83], v[104:105], -0.5, v[124:125]
	v_add_f64 v[104:105], v[124:125], v[170:171]
	ds_write_b128 v66, v[74:77]
	ds_write_b128 v66, v[78:81] offset:2400
	ds_write_b128 v66, v[100:103] offset:4800
	v_fma_f64 v[108:109], v[64:65], -0.5, v[126:127]
	v_add_f64 v[100:101], v[178:179], v[182:183]
	v_add_f64 v[64:65], v[62:63], v[176:177]
	v_add3_u32 v66, 0, v55, v54
	v_fma_f64 v[74:75], v[106:107], s[4:5], v[82:83]
	v_add_f64 v[62:63], v[104:105], v[174:175]
	v_fma_f64 v[78:79], v[106:107], s[6:7], v[82:83]
	v_add_f64 v[82:83], v[180:181], v[184:185]
	v_fma_f64 v[76:77], v[110:111], s[6:7], v[108:109]
	v_fma_f64 v[54:55], v[100:101], -0.5, v[128:129]
	v_add_f64 v[100:101], v[130:131], v[180:181]
	v_add_f64 v[102:103], v[128:129], v[178:179]
	v_add_f64 v[104:105], v[180:181], -v[184:185]
	v_fma_f64 v[80:81], v[110:111], s[4:5], v[108:109]
	ds_write_b128 v66, v[62:65]
	v_fma_f64 v[82:83], v[82:83], -0.5, v[130:131]
	v_add_f64 v[106:107], v[178:179], -v[182:183]
	ds_write_b128 v66, v[74:77] offset:2400
	ds_write_b128 v66, v[78:81] offset:4800
	v_add_f64 v[64:65], v[100:101], v[184:185]
	v_add_f64 v[62:63], v[102:103], v[182:183]
	v_fma_f64 v[74:75], v[104:105], s[4:5], v[54:55]
	v_fma_f64 v[78:79], v[104:105], s[6:7], v[54:55]
	v_add_f64 v[54:55], v[186:187], v[44:45]
	v_add_f64 v[100:101], v[42:43], v[40:41]
	v_add3_u32 v66, 0, v61, v60
	v_fma_f64 v[76:77], v[106:107], s[6:7], v[82:83]
	v_fma_f64 v[80:81], v[106:107], s[4:5], v[82:83]
	v_add_f64 v[82:83], v[6:7], v[186:187]
	ds_write_b128 v66, v[62:65]
	v_add_f64 v[62:63], v[42:43], -v[40:41]
	v_fma_f64 v[54:55], v[54:55], -0.5, v[6:7]
	v_fma_f64 v[60:61], v[100:101], -0.5, v[4:5]
	v_add_f64 v[4:5], v[4:5], v[42:43]
	v_add_f64 v[100:101], v[186:187], -v[44:45]
	v_mul_u32_u24_e32 v64, 0x1c20, v72
	v_add_f64 v[6:7], v[82:83], v[44:45]
	v_add_f64 v[44:45], v[32:33], v[34:35]
	v_lshlrev_b32_e32 v65, 4, v73
	v_fma_f64 v[42:43], v[62:63], s[6:7], v[54:55]
	v_fma_f64 v[62:63], v[62:63], s[4:5], v[54:55]
	v_add_f64 v[54:55], v[38:39], v[36:37]
	ds_write_b128 v66, v[74:77] offset:2400
	ds_write_b128 v66, v[78:81] offset:4800
	v_add_f64 v[4:5], v[4:5], v[40:41]
	v_add3_u32 v66, 0, v64, v65
	v_add_f64 v[64:65], v[134:135], v[38:39]
	v_add_f64 v[72:73], v[132:133], v[32:33]
	v_fma_f64 v[40:41], v[100:101], s[4:5], v[60:61]
	v_fma_f64 v[44:45], v[44:45], -0.5, v[132:133]
	v_add_f64 v[38:39], v[38:39], -v[36:37]
	v_fma_f64 v[54:55], v[54:55], -0.5, v[134:135]
	v_add_f64 v[74:75], v[32:33], -v[34:35]
	v_fma_f64 v[60:61], v[100:101], s[6:7], v[60:61]
	ds_write_b128 v66, v[4:7]
	ds_write_b128 v66, v[40:43] offset:2400
	ds_write_b128 v66, v[60:63] offset:4800
	v_add_f64 v[6:7], v[64:65], v[36:37]
	v_add_f64 v[4:5], v[72:73], v[34:35]
	v_fma_f64 v[32:33], v[38:39], s[4:5], v[44:45]
	v_fma_f64 v[34:35], v[74:75], s[6:7], v[54:55]
	;; [unrolled: 1-line block ×3, first 2 shown]
	v_mul_u32_u24_e32 v44, 0x1c20, v71
	v_lshlrev_b32_e32 v45, 4, v70
	v_add_f64 v[40:41], v[24:25], v[20:21]
	v_add_f64 v[42:43], v[26:27], v[22:23]
	v_add3_u32 v44, 0, v44, v45
	ds_write_b128 v44, v[4:7]
	ds_write_b128 v44, v[32:35] offset:2400
	v_add_f64 v[4:5], v[10:11], v[26:27]
	v_add_f64 v[32:33], v[8:9], v[24:25]
	v_add_f64 v[26:27], v[26:27], -v[22:23]
	v_fma_f64 v[38:39], v[74:75], s[4:5], v[54:55]
	v_fma_f64 v[34:35], v[40:41], -0.5, v[8:9]
	v_fma_f64 v[40:41], v[42:43], -0.5, v[10:11]
	v_add_f64 v[42:43], v[12:13], v[14:15]
	v_add_f64 v[24:25], v[24:25], -v[20:21]
	v_add_f64 v[6:7], v[4:5], v[22:23]
	v_add_f64 v[22:23], v[18:19], v[16:17]
	;; [unrolled: 1-line block ×4, first 2 shown]
	v_fma_f64 v[8:9], v[26:27], s[4:5], v[34:35]
	v_fma_f64 v[20:21], v[26:27], s[6:7], v[34:35]
	v_fma_f64 v[26:27], v[42:43], -0.5, v[0:1]
	v_add_f64 v[0:1], v[0:1], v[12:13]
	ds_write_b128 v44, v[36:39] offset:4800
	v_add_f64 v[18:19], v[18:19], -v[16:17]
	v_fma_f64 v[34:35], v[22:23], -0.5, v[2:3]
	v_add_f64 v[36:37], v[12:13], -v[14:15]
	v_fma_f64 v[10:11], v[24:25], s[6:7], v[40:41]
	v_add_f64 v[2:3], v[32:33], v[16:17]
	v_fma_f64 v[22:23], v[24:25], s[4:5], v[40:41]
	v_add_f64 v[0:1], v[0:1], v[14:15]
	v_mul_u32_u24_e32 v24, 0x1c20, v68
	v_fma_f64 v[12:13], v[18:19], s[4:5], v[26:27]
	v_fma_f64 v[16:17], v[18:19], s[6:7], v[26:27]
	;; [unrolled: 1-line block ×4, first 2 shown]
	v_lshlrev_b32_e32 v25, 4, v69
	v_add3_u32 v24, 0, v24, v25
	ds_write_b128 v24, v[4:7]
	ds_write_b128 v24, v[8:11] offset:2400
	ds_write_b128 v24, v[20:23] offset:4800
	v_lshl_add_u32 v4, v67, 4, 0
	ds_write_b128 v4, v[0:3] offset:57600
	ds_write_b128 v4, v[12:15] offset:60000
	;; [unrolled: 1-line block ×3, first 2 shown]
	v_add_co_u32_e32 v0, vcc, s10, v30
	v_addc_co_u32_e32 v1, vcc, 0, v31, vcc
	v_add_co_u32_e32 v2, vcc, s11, v30
	v_addc_co_u32_e32 v3, vcc, 0, v31, vcc
	s_waitcnt lgkmcnt(0)
	s_barrier
	global_load_dwordx4 v[20:23], v[2:3], off offset:2944
	global_load_dwordx4 v[4:7], v[0:1], off offset:16
	v_lshlrev_b32_e32 v0, 1, v88
	v_mov_b32_e32 v1, v29
	v_lshlrev_b64 v[0:1], 4, v[0:1]
	v_add_u32_e32 v54, 0xb4, v28
	v_add_co_u32_e32 v32, vcc, s8, v0
	v_addc_co_u32_e32 v33, vcc, v53, v1, vcc
	v_add_co_u32_e32 v0, vcc, s11, v32
	v_addc_co_u32_e32 v1, vcc, 0, v33, vcc
	global_load_dwordx4 v[12:15], v[0:1], off offset:2944
	v_add_co_u32_e32 v0, vcc, s10, v32
	v_addc_co_u32_e32 v1, vcc, 0, v33, vcc
	global_load_dwordx4 v[8:11], v[0:1], off offset:16
	v_lshlrev_b32_e32 v0, 1, v97
	v_mov_b32_e32 v1, v29
	v_lshlrev_b64 v[0:1], 4, v[0:1]
	v_mov_b32_e32 v55, v29
	v_add_co_u32_e32 v34, vcc, s8, v0
	v_addc_co_u32_e32 v35, vcc, v53, v1, vcc
	v_add_co_u32_e32 v0, vcc, s10, v34
	v_addc_co_u32_e32 v1, vcc, 0, v35, vcc
	;; [unrolled: 2-line block ×3, first 2 shown]
	global_load_dwordx4 v[16:19], v[2:3], off offset:2944
	global_load_dwordx4 v[24:27], v[0:1], off offset:16
	v_subrev_u32_e32 v0, 45, v84
	v_cmp_gt_u32_e32 vcc, 45, v84
	v_cndmask_b32_e32 v36, v0, v96, vcc
	v_lshlrev_b32_e32 v0, 1, v36
	v_mov_b32_e32 v1, v29
	v_lshlrev_b64 v[0:1], 4, v[0:1]
	v_lshlrev_b64 v[54:55], 4, v[54:55]
	v_add_co_u32_e32 v0, vcc, s8, v0
	v_addc_co_u32_e32 v1, vcc, v53, v1, vcc
	v_add_co_u32_e32 v41, vcc, s11, v0
	v_addc_co_u32_e32 v42, vcc, 0, v1, vcc
	v_add_co_u32_e32 v43, vcc, s10, v0
	v_addc_co_u32_e32 v44, vcc, 0, v1, vcc
	global_load_dwordx4 v[37:40], v[41:42], off offset:2944
	global_load_dwordx4 v[0:3], v[43:44], off offset:16
	ds_read_b128 v[41:44], v99 offset:21600
	v_add_co_u32_e32 v45, vcc, s8, v54
	v_addc_co_u32_e32 v82, vcc, v53, v55, vcc
	ds_read_b128 v[60:63], v99
	ds_read_b128 v[64:67], v99 offset:43200
	v_add_co_u32_e32 v80, vcc, s11, v45
	v_addc_co_u32_e32 v81, vcc, 0, v82, vcc
	ds_read_b128 v[68:71], v99 offset:45360
	ds_read_b128 v[72:75], v99 offset:23760
	v_add_u32_e32 v28, 0x1c2, v28
	ds_read_b128 v[76:79], v99 offset:25920
	s_waitcnt vmcnt(7) lgkmcnt(5)
	v_mul_f64 v[54:55], v[43:44], v[22:23]
	v_mul_f64 v[22:23], v[41:42], v[22:23]
	s_waitcnt vmcnt(6) lgkmcnt(3)
	v_mul_f64 v[132:133], v[66:67], v[6:7]
	v_mul_f64 v[136:137], v[64:65], v[6:7]
	v_add_co_u32_e32 v6, vcc, s10, v45
	v_addc_co_u32_e32 v7, vcc, 0, v82, vcc
	v_fma_f64 v[54:55], v[41:42], v[20:21], -v[54:55]
	v_fma_f64 v[148:149], v[43:44], v[20:21], v[22:23]
	global_load_dwordx4 v[20:23], v[80:81], off offset:2944
	global_load_dwordx4 v[41:44], v[6:7], off offset:16
	v_lshlrev_b64 v[6:7], 4, v[28:29]
	v_fma_f64 v[150:151], v[64:65], v[4:5], -v[132:133]
	v_fma_f64 v[152:153], v[66:67], v[4:5], v[136:137]
	s_waitcnt vmcnt(7) lgkmcnt(1)
	v_mul_f64 v[138:139], v[74:75], v[14:15]
	v_mul_f64 v[140:141], v[72:73], v[14:15]
	s_waitcnt vmcnt(6)
	v_mul_f64 v[144:145], v[70:71], v[10:11]
	v_mul_f64 v[146:147], v[68:69], v[10:11]
	v_add_co_u32_e32 v10, vcc, s8, v6
	v_addc_co_u32_e32 v11, vcc, v53, v7, vcc
	v_add_co_u32_e32 v6, vcc, s11, v10
	v_addc_co_u32_e32 v7, vcc, 0, v11, vcc
	;; [unrolled: 2-line block ×3, first 2 shown]
	global_load_dwordx4 v[80:83], v[6:7], off offset:2944
	global_load_dwordx4 v[100:103], v[10:11], off offset:16
	v_mul_u32_u24_sdwa v11, v93, s13 dst_sel:DWORD dst_unused:UNUSED_PAD src0_sel:WORD_0 src1_sel:DWORD
	v_mul_lo_u16_sdwa v6, v11, s12 dst_sel:DWORD dst_unused:UNUSED_PAD src0_sel:BYTE_3 src1_sel:DWORD
	v_sub_u16_e32 v14, v93, v6
	v_lshlrev_b32_e32 v6, 5, v14
	v_add_co_u32_e32 v10, vcc, s8, v6
	v_addc_co_u32_e32 v15, vcc, 0, v53, vcc
	v_add_co_u32_e32 v6, vcc, s11, v10
	v_addc_co_u32_e32 v7, vcc, 0, v15, vcc
	;; [unrolled: 2-line block ×3, first 2 shown]
	global_load_dwordx4 v[104:107], v[6:7], off offset:2944
	global_load_dwordx4 v[108:111], v[112:113], off offset:16
	v_mul_u32_u24_sdwa v6, v92, s13 dst_sel:DWORD dst_unused:UNUSED_PAD src0_sel:WORD_0 src1_sel:DWORD
	v_mul_lo_u16_sdwa v6, v6, s12 dst_sel:DWORD dst_unused:UNUSED_PAD src0_sel:BYTE_3 src1_sel:DWORD
	v_sub_u16_e32 v10, v92, v6
	v_lshlrev_b32_e32 v6, 5, v10
	v_add_co_u32_e32 v15, vcc, s8, v6
	v_addc_co_u32_e32 v28, vcc, 0, v53, vcc
	v_add_co_u32_e32 v6, vcc, s11, v15
	v_addc_co_u32_e32 v7, vcc, 0, v28, vcc
	;; [unrolled: 2-line block ×3, first 2 shown]
	global_load_dwordx4 v[112:115], v[6:7], off offset:2944
	s_nop 0
	global_load_dwordx4 v[116:119], v[116:117], off offset:16
	v_mul_u32_u24_sdwa v6, v91, s13 dst_sel:DWORD dst_unused:UNUSED_PAD src0_sel:WORD_0 src1_sel:DWORD
	v_mul_lo_u16_sdwa v6, v6, s12 dst_sel:DWORD dst_unused:UNUSED_PAD src0_sel:BYTE_3 src1_sel:DWORD
	v_sub_u16_e32 v6, v91, v6
	v_lshlrev_b32_e32 v7, 5, v6
	v_add_co_u32_e32 v7, vcc, s8, v7
	v_addc_co_u32_e32 v15, vcc, 0, v53, vcc
	v_add_co_u32_e32 v120, vcc, s11, v7
	v_addc_co_u32_e32 v121, vcc, 0, v15, vcc
	v_add_co_u32_e32 v124, vcc, s10, v7
	v_mul_u32_u24_sdwa v7, v90, s13 dst_sel:DWORD dst_unused:UNUSED_PAD src0_sel:WORD_0 src1_sel:DWORD
	v_mul_lo_u16_sdwa v7, v7, s12 dst_sel:DWORD dst_unused:UNUSED_PAD src0_sel:BYTE_3 src1_sel:DWORD
	v_sub_u16_e32 v7, v90, v7
	v_addc_co_u32_e32 v125, vcc, 0, v15, vcc
	v_lshlrev_b32_e32 v15, 5, v7
	v_add_co_u32_e32 v15, vcc, s8, v15
	v_addc_co_u32_e32 v28, vcc, 0, v53, vcc
	v_add_co_u32_e32 v128, vcc, s11, v15
	v_addc_co_u32_e32 v129, vcc, 0, v28, vcc
	global_load_dwordx4 v[120:123], v[120:121], off offset:2944
	s_nop 0
	global_load_dwordx4 v[124:127], v[124:125], off offset:16
	v_add_co_u32_e32 v64, vcc, s10, v15
	global_load_dwordx4 v[128:131], v[128:129], off offset:2944
	v_addc_co_u32_e32 v65, vcc, 0, v28, vcc
	global_load_dwordx4 v[132:135], v[64:65], off offset:16
	ds_read_b128 v[64:67], v99 offset:47520
	v_fma_f64 v[154:155], v[72:73], v[12:13], -v[138:139]
	ds_read_b128 v[136:139], v99 offset:49680
	s_waitcnt vmcnt(15) lgkmcnt(2)
	v_mul_f64 v[4:5], v[78:79], v[18:19]
	v_fma_f64 v[12:13], v[74:75], v[12:13], v[140:141]
	s_waitcnt vmcnt(14) lgkmcnt(1)
	v_mul_f64 v[156:157], v[66:67], v[26:27]
	v_mul_f64 v[26:27], v[64:65], v[26:27]
	ds_read_b128 v[72:75], v99 offset:28080
	v_mul_f64 v[18:19], v[76:77], v[18:19]
	v_fma_f64 v[144:145], v[68:69], v[8:9], -v[144:145]
	v_fma_f64 v[8:9], v[70:71], v[8:9], v[146:147]
	v_fma_f64 v[76:77], v[76:77], v[16:17], -v[4:5]
	ds_read_b128 v[140:143], v99 offset:30240
	v_fma_f64 v[146:147], v[64:65], v[24:25], -v[156:157]
	v_fma_f64 v[27:28], v[66:67], v[24:25], v[26:27]
	s_waitcnt vmcnt(12) lgkmcnt(2)
	v_mul_f64 v[64:65], v[138:139], v[2:3]
	v_mul_f64 v[66:67], v[136:137], v[2:3]
	ds_read_b128 v[2:5], v99 offset:51840
	s_waitcnt lgkmcnt(2)
	v_mul_f64 v[158:159], v[74:75], v[39:40]
	v_mul_f64 v[39:40], v[72:73], v[39:40]
	s_waitcnt vmcnt(11) lgkmcnt(1)
	v_mul_f64 v[68:69], v[142:143], v[22:23]
	v_mul_f64 v[70:71], v[140:141], v[22:23]
	v_fma_f64 v[78:79], v[78:79], v[16:17], v[18:19]
	ds_read_b128 v[15:18], v99 offset:32400
	ds_read_b128 v[22:25], v99 offset:54000
	v_fma_f64 v[136:137], v[136:137], v[0:1], -v[64:65]
	v_fma_f64 v[138:139], v[138:139], v[0:1], v[66:67]
	v_fma_f64 v[156:157], v[72:73], v[37:38], -v[158:159]
	s_waitcnt vmcnt(10) lgkmcnt(2)
	v_mul_f64 v[72:73], v[4:5], v[43:44]
	v_mul_f64 v[43:44], v[2:3], v[43:44]
	v_fma_f64 v[158:159], v[74:75], v[37:38], v[39:40]
	s_waitcnt vmcnt(9) lgkmcnt(1)
	v_mul_f64 v[74:75], v[17:18], v[82:83]
	v_fma_f64 v[140:141], v[140:141], v[20:21], -v[68:69]
	v_fma_f64 v[142:143], v[142:143], v[20:21], v[70:71]
	v_mul_f64 v[19:20], v[15:16], v[82:83]
	ds_read_b128 v[37:40], v58
	v_fma_f64 v[160:161], v[2:3], v[41:42], -v[72:73]
	ds_read_b128 v[0:3], v99 offset:34560
	v_fma_f64 v[4:5], v[4:5], v[41:42], v[43:44]
	ds_read_b128 v[41:44], v99 offset:56160
	ds_read_b128 v[64:67], v99 offset:36720
	v_fma_f64 v[162:163], v[15:16], v[80:81], -v[74:75]
	s_waitcnt vmcnt(8) lgkmcnt(4)
	v_mul_f64 v[15:16], v[24:25], v[102:103]
	v_mul_f64 v[72:73], v[22:23], v[102:103]
	s_waitcnt vmcnt(6) lgkmcnt(1)
	v_mul_f64 v[102:103], v[43:44], v[110:111]
	v_mul_f64 v[74:75], v[2:3], v[106:107]
	;; [unrolled: 1-line block ×3, first 2 shown]
	v_fma_f64 v[164:165], v[17:18], v[80:81], v[19:20]
	s_waitcnt vmcnt(5) lgkmcnt(0)
	v_mul_f64 v[17:18], v[66:67], v[114:115]
	v_mul_f64 v[106:107], v[41:42], v[110:111]
	ds_read_b128 v[68:71], v99 offset:58320
	v_fma_f64 v[166:167], v[22:23], v[100:101], -v[15:16]
	v_fma_f64 v[174:175], v[41:42], v[108:109], -v[102:103]
	v_mul_f64 v[41:42], v[64:65], v[114:115]
	v_fma_f64 v[170:171], v[0:1], v[104:105], -v[74:75]
	v_fma_f64 v[172:173], v[2:3], v[104:105], v[82:83]
	ds_read_b128 v[0:3], v99 offset:38880
	v_fma_f64 v[178:179], v[64:65], v[112:113], -v[17:18]
	ds_read_b128 v[15:18], v99 offset:60480
	ds_read_b128 v[19:22], v99 offset:41040
	v_fma_f64 v[168:169], v[24:25], v[100:101], v[72:73]
	ds_read_b128 v[23:26], v99 offset:62640
	v_fma_f64 v[180:181], v[66:67], v[112:113], v[41:42]
	v_fma_f64 v[176:177], v[43:44], v[108:109], v[106:107]
	s_waitcnt vmcnt(4) lgkmcnt(4)
	v_mul_f64 v[43:44], v[70:71], v[118:119]
	v_mul_f64 v[64:65], v[68:69], v[118:119]
	v_add_f64 v[66:67], v[148:149], -v[152:153]
	v_add_f64 v[108:109], v[158:159], -v[138:139]
	;; [unrolled: 1-line block ×3, first 2 shown]
	v_cmp_lt_u32_e32 vcc, 44, v84
	s_movk_i32 s10, 0x5460
	v_lshlrev_b32_e32 v14, 4, v14
	v_fma_f64 v[182:183], v[68:69], v[116:117], -v[43:44]
	v_fma_f64 v[184:185], v[70:71], v[116:117], v[64:65]
	v_add_f64 v[43:44], v[62:63], v[148:149]
	s_waitcnt vmcnt(3) lgkmcnt(3)
	v_mul_f64 v[72:73], v[2:3], v[122:123]
	v_mul_f64 v[74:75], v[0:1], v[122:123]
	s_waitcnt vmcnt(2) lgkmcnt(2)
	v_mul_f64 v[80:81], v[17:18], v[126:127]
	v_mul_f64 v[82:83], v[15:16], v[126:127]
	s_waitcnt vmcnt(1) lgkmcnt(1)
	v_mul_f64 v[41:42], v[21:22], v[130:131]
	v_add_f64 v[64:65], v[60:61], v[54:55]
	s_movk_i32 s11, 0x53c0
	v_fma_f64 v[186:187], v[0:1], v[120:121], -v[72:73]
	v_fma_f64 v[188:189], v[2:3], v[120:121], v[74:75]
	v_mul_f64 v[2:3], v[19:20], v[130:131]
	v_fma_f64 v[190:191], v[15:16], v[124:125], -v[80:81]
	v_fma_f64 v[0:1], v[19:20], v[128:129], -v[41:42]
	s_waitcnt vmcnt(0) lgkmcnt(0)
	v_mul_f64 v[19:20], v[23:24], v[134:135]
	v_fma_f64 v[192:193], v[17:18], v[124:125], v[82:83]
	v_mul_f64 v[15:16], v[25:26], v[134:135]
	v_add_f64 v[17:18], v[54:55], v[150:151]
	v_add_f64 v[41:42], v[148:149], v[152:153]
	v_fma_f64 v[128:129], v[21:22], v[128:129], v[2:3]
	v_add_f64 v[54:55], v[54:55], -v[150:151]
	v_add_f64 v[74:75], v[78:79], v[27:28]
	v_fma_f64 v[130:131], v[25:26], v[132:133], v[19:20]
	v_add_f64 v[25:26], v[154:155], v[144:145]
	ds_read_b128 v[19:22], v49
	v_fma_f64 v[2:3], v[23:24], v[132:133], -v[15:16]
	v_fma_f64 v[60:61], v[17:18], -0.5, v[60:61]
	v_fma_f64 v[62:63], v[41:42], -0.5, v[62:63]
	v_add_f64 v[17:18], v[43:44], v[152:153]
	ds_read_b128 v[41:44], v48
	v_add_f64 v[15:16], v[64:65], v[150:151]
	v_add_f64 v[64:65], v[12:13], v[8:9]
	s_waitcnt lgkmcnt(1)
	v_add_f64 v[68:69], v[21:22], v[12:13]
	v_fma_f64 v[70:71], v[25:26], -0.5, v[19:20]
	v_add_f64 v[12:13], v[12:13], -v[8:9]
	v_fma_f64 v[23:24], v[66:67], s[4:5], v[60:61]
	v_fma_f64 v[60:61], v[66:67], s[6:7], v[60:61]
	v_add_f64 v[66:67], v[19:20], v[154:155]
	v_fma_f64 v[25:26], v[54:55], s[6:7], v[62:63]
	v_fma_f64 v[62:63], v[54:55], s[4:5], v[62:63]
	v_fma_f64 v[54:55], v[64:65], -0.5, v[21:22]
	v_add_f64 v[21:22], v[68:69], v[8:9]
	v_add_f64 v[8:9], v[154:155], -v[144:145]
	v_fma_f64 v[64:65], v[12:13], s[4:5], v[70:71]
	v_fma_f64 v[68:69], v[12:13], s[6:7], v[70:71]
	s_waitcnt lgkmcnt(0)
	v_add_f64 v[12:13], v[43:44], v[78:79]
	v_add_f64 v[72:73], v[76:77], v[146:147]
	;; [unrolled: 1-line block ×4, first 2 shown]
	v_fma_f64 v[100:101], v[74:75], -0.5, v[43:44]
	v_fma_f64 v[66:67], v[8:9], s[6:7], v[54:55]
	v_fma_f64 v[70:71], v[8:9], s[4:5], v[54:55]
	v_add_f64 v[54:55], v[78:79], -v[27:28]
	v_add_f64 v[78:79], v[156:157], v[136:137]
	v_add_f64 v[43:44], v[12:13], v[27:28]
	;; [unrolled: 1-line block ×3, first 2 shown]
	v_fma_f64 v[8:9], v[72:73], -0.5, v[41:42]
	ds_read_b128 v[72:75], v59
	v_add_f64 v[41:42], v[80:81], v[146:147]
	ds_read_b128 v[80:83], v47
	v_add_f64 v[27:28], v[76:77], -v[146:147]
	ds_read_b128 v[112:115], v46
	ds_read_b128 v[116:119], v52
	;; [unrolled: 1-line block ×4, first 2 shown]
	s_waitcnt lgkmcnt(5)
	v_fma_f64 v[106:107], v[78:79], -0.5, v[72:73]
	v_add_f64 v[104:105], v[72:73], v[156:157]
	v_fma_f64 v[12:13], v[12:13], -0.5, v[74:75]
	v_fma_f64 v[76:77], v[54:55], s[4:5], v[8:9]
	v_add_f64 v[102:103], v[74:75], v[158:159]
	v_fma_f64 v[72:73], v[54:55], s[6:7], v[8:9]
	v_add_f64 v[8:9], v[140:141], v[160:161]
	v_fma_f64 v[78:79], v[27:28], s[6:7], v[100:101]
	v_fma_f64 v[74:75], v[27:28], s[4:5], v[100:101]
	v_add_f64 v[100:101], v[104:105], v[136:137]
	v_fma_f64 v[104:105], v[108:109], s[4:5], v[106:107]
	v_fma_f64 v[108:109], v[108:109], s[6:7], v[106:107]
	;; [unrolled: 1-line block ×4, first 2 shown]
	v_mov_b32_e32 v12, 0x5460
	v_cndmask_b32_e32 v12, 0, v12, vcc
	v_lshlrev_b32_e32 v13, 4, v36
	v_add_f64 v[102:103], v[102:103], v[138:139]
	s_waitcnt lgkmcnt(0)
	s_barrier
	ds_write_b128 v99, v[15:18]
	ds_write_b128 v99, v[23:26] offset:7200
	ds_write_b128 v99, v[60:63] offset:14400
	ds_write_b128 v49, v[19:22]
	ds_write_b128 v49, v[64:67] offset:7200
	ds_write_b128 v49, v[68:71] offset:14400
	;; [unrolled: 3-line block ×3, first 2 shown]
	v_add3_u32 v17, 0, v12, v13
	v_add_f64 v[12:13], v[142:143], v[4:5]
	v_add_f64 v[15:16], v[82:83], v[142:143]
	v_fma_f64 v[8:9], v[8:9], -0.5, v[80:81]
	v_add_f64 v[19:20], v[80:81], v[140:141]
	v_add_f64 v[21:22], v[142:143], -v[4:5]
	ds_write_b128 v17, v[100:103]
	ds_write_b128 v17, v[104:107] offset:7200
	ds_write_b128 v17, v[108:111] offset:14400
	v_add_f64 v[25:26], v[140:141], -v[160:161]
	v_fma_f64 v[12:13], v[12:13], -0.5, v[82:83]
	v_add_f64 v[17:18], v[15:16], v[4:5]
	v_add_f64 v[4:5], v[162:163], v[166:167]
	;; [unrolled: 1-line block ×3, first 2 shown]
	v_fma_f64 v[19:20], v[21:22], s[4:5], v[8:9]
	v_fma_f64 v[23:24], v[21:22], s[6:7], v[8:9]
	v_add_f64 v[8:9], v[164:165], v[168:169]
	v_add_f64 v[27:28], v[114:115], v[164:165]
	v_fma_f64 v[21:22], v[25:26], s[6:7], v[12:13]
	v_add_f64 v[54:55], v[164:165], -v[168:169]
	v_fma_f64 v[4:5], v[4:5], -0.5, v[112:113]
	v_add_f64 v[62:63], v[170:171], v[174:175]
	v_fma_f64 v[25:26], v[25:26], s[4:5], v[12:13]
	v_add_f64 v[12:13], v[172:173], v[176:177]
	v_fma_f64 v[8:9], v[8:9], -0.5, v[114:115]
	v_add_f64 v[43:44], v[27:28], v[168:169]
	v_add_f64 v[27:28], v[162:163], -v[166:167]
	v_add_f64 v[41:42], v[112:113], v[162:163]
	v_fma_f64 v[60:61], v[54:55], s[4:5], v[4:5]
	v_fma_f64 v[70:71], v[62:63], -0.5, v[37:38]
	v_add_f64 v[64:65], v[39:40], v[172:173]
	v_add_f64 v[68:69], v[37:38], v[170:171]
	v_add_f64 v[72:73], v[172:173], -v[176:177]
	v_fma_f64 v[12:13], v[12:13], -0.5, v[39:40]
	v_add_f64 v[74:75], v[170:171], -v[174:175]
	v_fma_f64 v[36:37], v[54:55], s[6:7], v[4:5]
	v_fma_f64 v[62:63], v[27:28], s[6:7], v[8:9]
	;; [unrolled: 1-line block ×3, first 2 shown]
	v_add_f64 v[4:5], v[178:179], v[182:183]
	v_add_f64 v[8:9], v[180:181], v[184:185]
	;; [unrolled: 1-line block ×5, first 2 shown]
	v_fma_f64 v[68:69], v[72:73], s[4:5], v[70:71]
	v_fma_f64 v[72:73], v[72:73], s[6:7], v[70:71]
	v_fma_f64 v[70:71], v[74:75], s[6:7], v[12:13]
	v_fma_f64 v[74:75], v[74:75], s[4:5], v[12:13]
	ds_write_b128 v99, v[15:18] offset:23040
	ds_write_b128 v99, v[19:22] offset:30240
	;; [unrolled: 1-line block ×3, first 2 shown]
	v_mul_u32_u24_sdwa v13, v11, s10 dst_sel:DWORD dst_unused:UNUSED_PAD src0_sel:BYTE_3 src1_sel:DWORD
	v_fma_f64 v[4:5], v[4:5], -0.5, v[116:117]
	v_add_f64 v[11:12], v[118:119], v[180:181]
	v_add_f64 v[15:16], v[116:117], v[178:179]
	v_fma_f64 v[8:9], v[8:9], -0.5, v[118:119]
	v_add_f64 v[19:20], v[180:181], -v[184:185]
	v_add_f64 v[21:22], v[178:179], -v[182:183]
	v_add3_u32 v17, 0, v13, v14
	ds_write_b128 v99, v[41:44] offset:25200
	ds_write_b128 v99, v[60:63] offset:32400
	;; [unrolled: 1-line block ×3, first 2 shown]
	ds_write_b128 v17, v[64:67]
	ds_write_b128 v17, v[68:71] offset:7200
	v_add_f64 v[13:14], v[11:12], v[184:185]
	v_add_f64 v[11:12], v[15:16], v[182:183]
	ds_write_b128 v17, v[72:75] offset:14400
	v_fma_f64 v[15:16], v[19:20], s[4:5], v[4:5]
	v_fma_f64 v[17:18], v[21:22], s[6:7], v[8:9]
	;; [unrolled: 1-line block ×4, first 2 shown]
	v_add_f64 v[4:5], v[186:187], v[190:191]
	v_lshl_add_u32 v23, v10, 4, 0
	v_add_f64 v[8:9], v[188:189], v[192:193]
	ds_write_b128 v23, v[11:14] offset:43200
	v_add_f64 v[10:11], v[122:123], v[188:189]
	ds_write_b128 v23, v[15:18] offset:50400
	;; [unrolled: 2-line block ×3, first 2 shown]
	v_add_f64 v[20:21], v[128:129], v[130:131]
	v_add_f64 v[12:13], v[120:121], v[186:187]
	v_fma_f64 v[4:5], v[4:5], -0.5, v[120:121]
	v_add_f64 v[14:15], v[188:189], -v[192:193]
	v_fma_f64 v[18:19], v[8:9], -0.5, v[122:123]
	v_add_f64 v[22:23], v[186:187], -v[190:191]
	v_add_f64 v[26:27], v[126:127], v[128:129]
	v_add_f64 v[36:37], v[124:125], v[0:1]
	v_fma_f64 v[24:25], v[16:17], -0.5, v[124:125]
	v_add_f64 v[38:39], v[128:129], -v[130:131]
	v_fma_f64 v[40:41], v[20:21], -0.5, v[126:127]
	v_add_f64 v[0:1], v[0:1], -v[2:3]
	v_add_f64 v[10:11], v[10:11], v[192:193]
	v_add_f64 v[8:9], v[12:13], v[190:191]
	v_fma_f64 v[12:13], v[14:15], s[4:5], v[4:5]
	v_fma_f64 v[16:17], v[14:15], s[6:7], v[4:5]
	;; [unrolled: 1-line block ×3, first 2 shown]
	v_add_f64 v[4:5], v[26:27], v[130:131]
	v_add_f64 v[2:3], v[36:37], v[2:3]
	v_fma_f64 v[18:19], v[22:23], s[4:5], v[18:19]
	v_fma_f64 v[20:21], v[38:39], s[4:5], v[24:25]
	;; [unrolled: 1-line block ×5, first 2 shown]
	v_lshl_add_u32 v0, v6, 4, 0
	ds_write_b128 v0, v[8:11] offset:43200
	ds_write_b128 v0, v[12:15] offset:50400
	;; [unrolled: 1-line block ×3, first 2 shown]
	v_lshl_add_u32 v0, v7, 4, 0
	s_movk_i32 s10, 0x5000
	ds_write_b128 v0, v[2:5] offset:43200
	ds_write_b128 v0, v[20:23] offset:50400
	;; [unrolled: 1-line block ×3, first 2 shown]
	v_add_co_u32_e32 v0, vcc, s10, v30
	v_addc_co_u32_e32 v1, vcc, 0, v31, vcc
	s_waitcnt lgkmcnt(0)
	s_barrier
	global_load_dwordx4 v[24:27], v[0:1], off offset:960
	v_add_co_u32_e32 v0, vcc, s11, v30
	v_addc_co_u32_e32 v1, vcc, 0, v31, vcc
	global_load_dwordx4 v[0:3], v[0:1], off offset:16
	v_add_co_u32_e32 v4, vcc, s10, v32
	v_addc_co_u32_e32 v5, vcc, 0, v33, vcc
	;; [unrolled: 3-line block ×4, first 2 shown]
	v_add_co_u32_e32 v10, vcc, s10, v34
	v_addc_co_u32_e32 v11, vcc, 0, v35, vcc
	v_lshlrev_b32_e32 v28, 1, v96
	global_load_dwordx4 v[16:19], v[10:11], off offset:960
	global_load_dwordx4 v[20:23], v[8:9], off offset:16
	v_lshlrev_b64 v[8:9], 4, v[28:29]
	ds_read_b128 v[30:33], v99 offset:21600
	v_add_co_u32_e32 v8, vcc, s8, v8
	v_addc_co_u32_e32 v9, vcc, v53, v9, vcc
	v_add_co_u32_e32 v38, vcc, s10, v8
	v_addc_co_u32_e32 v39, vcc, 0, v9, vcc
	v_lshlrev_b32_e32 v28, 1, v95
	v_add_co_u32_e32 v40, vcc, s11, v8
	v_lshlrev_b64 v[42:43], 4, v[28:29]
	v_addc_co_u32_e32 v41, vcc, 0, v9, vcc
	v_add_co_u32_e32 v28, vcc, s8, v42
	v_addc_co_u32_e32 v42, vcc, v53, v43, vcc
	v_add_co_u32_e32 v64, vcc, s10, v28
	v_addc_co_u32_e32 v65, vcc, 0, v42, vcc
	global_load_dwordx4 v[34:37], v[38:39], off offset:960
	global_load_dwordx4 v[8:11], v[40:41], off offset:16
	v_add_co_u32_e32 v66, vcc, s11, v28
	v_addc_co_u32_e32 v67, vcc, 0, v42, vcc
	ds_read_b128 v[38:41], v99
	global_load_dwordx4 v[42:45], v[64:65], off offset:960
	global_load_dwordx4 v[60:63], v[66:67], off offset:16
	v_lshlrev_b32_e32 v28, 1, v94
	v_lshlrev_b64 v[68:69], 4, v[28:29]
	v_add_co_u32_e32 v28, vcc, s8, v68
	v_addc_co_u32_e32 v72, vcc, v53, v69, vcc
	v_add_co_u32_e32 v80, vcc, s10, v28
	v_addc_co_u32_e32 v81, vcc, 0, v72, vcc
	v_add_co_u32_e32 v100, vcc, s11, v28
	v_lshlrev_b32_e32 v28, 1, v93
	v_addc_co_u32_e32 v101, vcc, 0, v72, vcc
	s_waitcnt vmcnt(9) lgkmcnt(1)
	v_mul_f64 v[54:55], v[32:33], v[26:27]
	v_mul_f64 v[26:27], v[30:31], v[26:27]
	v_fma_f64 v[54:55], v[30:31], v[24:25], -v[54:55]
	v_fma_f64 v[128:129], v[32:33], v[24:25], v[26:27]
	ds_read_b128 v[24:27], v99 offset:43200
	ds_read_b128 v[30:33], v99 offset:45360
	;; [unrolled: 1-line block ×4, first 2 shown]
	global_load_dwordx4 v[72:75], v[80:81], off offset:960
	global_load_dwordx4 v[76:79], v[100:101], off offset:16
	s_waitcnt vmcnt(10) lgkmcnt(3)
	v_mul_f64 v[82:83], v[26:27], v[2:3]
	v_mul_f64 v[2:3], v[24:25], v[2:3]
	s_waitcnt vmcnt(9) lgkmcnt(1)
	v_mul_f64 v[130:131], v[66:67], v[6:7]
	s_waitcnt vmcnt(8)
	v_mul_f64 v[132:133], v[32:33], v[14:15]
	v_mul_f64 v[14:15], v[30:31], v[14:15]
	;; [unrolled: 1-line block ×3, first 2 shown]
	v_fma_f64 v[134:135], v[24:25], v[0:1], -v[82:83]
	v_lshlrev_b64 v[24:25], 4, v[28:29]
	v_fma_f64 v[26:27], v[26:27], v[0:1], v[2:3]
	v_add_co_u32_e32 v28, vcc, s8, v24
	v_addc_co_u32_e32 v80, vcc, v53, v25, vcc
	v_add_co_u32_e32 v24, vcc, s10, v28
	v_addc_co_u32_e32 v25, vcc, 0, v80, vcc
	v_add_co_u32_e32 v104, vcc, s11, v28
	v_lshlrev_b32_e32 v28, 1, v92
	v_addc_co_u32_e32 v105, vcc, 0, v80, vcc
	global_load_dwordx4 v[80:83], v[24:25], off offset:960
	global_load_dwordx4 v[100:103], v[104:105], off offset:16
	v_lshlrev_b64 v[24:25], 4, v[28:29]
	v_fma_f64 v[64:65], v[64:65], v[4:5], -v[130:131]
	v_add_co_u32_e32 v28, vcc, s8, v24
	v_addc_co_u32_e32 v89, vcc, v53, v25, vcc
	v_add_co_u32_e32 v24, vcc, s10, v28
	v_addc_co_u32_e32 v25, vcc, 0, v89, vcc
	v_add_co_u32_e32 v112, vcc, s11, v28
	v_lshlrev_b32_e32 v28, 1, v91
	v_addc_co_u32_e32 v113, vcc, 0, v89, vcc
	global_load_dwordx4 v[104:107], v[24:25], off offset:960
	global_load_dwordx4 v[108:111], v[112:113], off offset:16
	v_lshlrev_b64 v[24:25], 4, v[28:29]
	v_fma_f64 v[130:131], v[30:31], v[12:13], -v[132:133]
	v_add_co_u32_e32 v28, vcc, s8, v24
	v_addc_co_u32_e32 v89, vcc, v53, v25, vcc
	v_add_co_u32_e32 v24, vcc, s10, v28
	v_addc_co_u32_e32 v25, vcc, 0, v89, vcc
	v_add_co_u32_e32 v120, vcc, s11, v28
	v_addc_co_u32_e32 v121, vcc, 0, v89, vcc
	global_load_dwordx4 v[112:115], v[24:25], off offset:960
	global_load_dwordx4 v[116:119], v[120:121], off offset:16
	v_lshlrev_b32_e32 v28, 1, v90
	v_lshlrev_b64 v[24:25], 4, v[28:29]
	ds_read_b128 v[0:3], v99 offset:47520
	v_add_co_u32_e32 v28, vcc, s8, v24
	v_addc_co_u32_e32 v53, vcc, v53, v25, vcc
	v_add_co_u32_e32 v24, vcc, s10, v28
	v_addc_co_u32_e32 v25, vcc, 0, v53, vcc
	global_load_dwordx4 v[120:123], v[24:25], off offset:960
	v_add_co_u32_e32 v24, vcc, s11, v28
	v_addc_co_u32_e32 v25, vcc, 0, v53, vcc
	global_load_dwordx4 v[124:127], v[24:25], off offset:16
	v_fma_f64 v[132:133], v[32:33], v[12:13], v[14:15]
	s_waitcnt vmcnt(14) lgkmcnt(0)
	v_mul_f64 v[30:31], v[2:3], v[22:23]
	v_mul_f64 v[32:33], v[0:1], v[22:23]
	v_fma_f64 v[66:67], v[66:67], v[4:5], v[6:7]
	ds_read_b128 v[4:7], v99 offset:28080
	ds_read_b128 v[12:15], v99 offset:49680
	v_mul_f64 v[136:137], v[70:71], v[18:19]
	v_mul_f64 v[18:19], v[68:69], v[18:19]
	ds_read_b128 v[22:25], v99 offset:30240
	s_waitcnt vmcnt(13) lgkmcnt(2)
	v_mul_f64 v[138:139], v[6:7], v[36:37]
	v_mul_f64 v[36:37], v[4:5], v[36:37]
	v_fma_f64 v[142:143], v[0:1], v[20:21], -v[30:31]
	v_fma_f64 v[144:145], v[2:3], v[20:21], v[32:33]
	ds_read_b128 v[0:3], v99 offset:51840
	s_waitcnt vmcnt(11) lgkmcnt(1)
	v_mul_f64 v[20:21], v[24:25], v[44:45]
	v_fma_f64 v[136:137], v[68:69], v[16:17], -v[136:137]
	v_fma_f64 v[140:141], v[70:71], v[16:17], v[18:19]
	v_fma_f64 v[138:139], v[4:5], v[34:35], -v[138:139]
	v_fma_f64 v[146:147], v[6:7], v[34:35], v[36:37]
	v_mul_f64 v[34:35], v[22:23], v[44:45]
	s_waitcnt vmcnt(10) lgkmcnt(0)
	v_mul_f64 v[36:37], v[2:3], v[62:63]
	v_mul_f64 v[44:45], v[0:1], v[62:63]
	ds_read_b128 v[4:7], v99 offset:32400
	ds_read_b128 v[16:19], v99 offset:54000
	ds_read_b128 v[30:33], v58
	v_mul_f64 v[68:69], v[14:15], v[10:11]
	v_mul_f64 v[10:11], v[12:13], v[10:11]
	s_waitcnt vmcnt(9) lgkmcnt(2)
	v_mul_f64 v[62:63], v[6:7], v[74:75]
	v_fma_f64 v[152:153], v[22:23], v[42:43], -v[20:21]
	v_fma_f64 v[156:157], v[0:1], v[60:61], -v[36:37]
	v_fma_f64 v[158:159], v[2:3], v[60:61], v[44:45]
	ds_read_b128 v[0:3], v99 offset:34560
	v_fma_f64 v[154:155], v[24:25], v[42:43], v[34:35]
	v_mul_f64 v[24:25], v[4:5], v[74:75]
	v_fma_f64 v[148:149], v[12:13], v[8:9], -v[68:69]
	v_fma_f64 v[74:75], v[4:5], v[72:73], -v[62:63]
	s_waitcnt vmcnt(7) lgkmcnt(0)
	v_mul_f64 v[36:37], v[2:3], v[82:83]
	v_mul_f64 v[42:43], v[0:1], v[82:83]
	;; [unrolled: 1-line block ×3, first 2 shown]
	v_fma_f64 v[150:151], v[14:15], v[8:9], v[10:11]
	ds_read_b128 v[8:11], v99 offset:56160
	ds_read_b128 v[12:15], v99 offset:36720
	v_mul_f64 v[34:35], v[16:17], v[78:79]
	ds_read_b128 v[20:23], v99 offset:58320
	v_fma_f64 v[72:73], v[6:7], v[72:73], v[24:25]
	v_fma_f64 v[82:83], v[0:1], v[80:81], -v[36:37]
	v_fma_f64 v[80:81], v[2:3], v[80:81], v[42:43]
	ds_read_b128 v[0:3], v99 offset:38880
	s_waitcnt vmcnt(6) lgkmcnt(3)
	v_mul_f64 v[44:45], v[10:11], v[102:103]
	v_mul_f64 v[60:61], v[8:9], v[102:103]
	s_waitcnt vmcnt(5) lgkmcnt(2)
	v_mul_f64 v[6:7], v[14:15], v[106:107]
	v_fma_f64 v[78:79], v[16:17], v[76:77], -v[4:5]
	v_mul_f64 v[16:17], v[12:13], v[106:107]
	v_fma_f64 v[76:77], v[18:19], v[76:77], v[34:35]
	s_waitcnt vmcnt(4) lgkmcnt(1)
	v_mul_f64 v[18:19], v[22:23], v[110:111]
	v_mul_f64 v[24:25], v[20:21], v[110:111]
	v_fma_f64 v[102:103], v[8:9], v[100:101], -v[44:45]
	v_fma_f64 v[100:101], v[10:11], v[100:101], v[60:61]
	v_fma_f64 v[106:107], v[12:13], v[104:105], -v[6:7]
	ds_read_b128 v[4:7], v99 offset:41040
	ds_read_b128 v[8:11], v99 offset:60480
	v_fma_f64 v[104:105], v[14:15], v[104:105], v[16:17]
	ds_read_b128 v[12:15], v99 offset:62640
	v_fma_f64 v[110:111], v[20:21], v[108:109], -v[18:19]
	v_fma_f64 v[108:109], v[22:23], v[108:109], v[24:25]
	s_waitcnt vmcnt(3) lgkmcnt(3)
	v_mul_f64 v[34:35], v[2:3], v[114:115]
	v_mul_f64 v[16:17], v[0:1], v[114:115]
	s_waitcnt vmcnt(2) lgkmcnt(1)
	v_mul_f64 v[36:37], v[10:11], v[118:119]
	v_mul_f64 v[42:43], v[8:9], v[118:119]
	v_add_f64 v[20:21], v[64:65], v[130:131]
	v_add_f64 v[22:23], v[66:67], v[132:133]
	v_add_f64 v[24:25], v[54:55], -v[134:135]
	v_cmp_ne_u32_e32 vcc, 0, v84
	v_fma_f64 v[114:115], v[0:1], v[112:113], -v[34:35]
	v_fma_f64 v[112:113], v[2:3], v[112:113], v[16:17]
	v_fma_f64 v[118:119], v[8:9], v[116:117], -v[36:37]
	v_fma_f64 v[116:117], v[10:11], v[116:117], v[42:43]
	v_add_f64 v[16:17], v[54:55], v[134:135]
	s_waitcnt vmcnt(1)
	v_mul_f64 v[0:1], v[6:7], v[122:123]
	v_mul_f64 v[2:3], v[4:5], v[122:123]
	v_add_f64 v[36:37], v[66:67], -v[132:133]
	s_waitcnt vmcnt(0) lgkmcnt(0)
	v_mul_f64 v[8:9], v[14:15], v[126:127]
	v_mul_f64 v[10:11], v[12:13], v[126:127]
	v_fma_f64 v[122:123], v[4:5], v[120:121], -v[0:1]
	v_add_f64 v[0:1], v[128:129], v[26:27]
	v_add_f64 v[4:5], v[38:39], v[54:55]
	v_fma_f64 v[120:121], v[6:7], v[120:121], v[2:3]
	v_add_f64 v[2:3], v[40:41], v[128:129]
	v_fma_f64 v[126:127], v[12:13], v[124:125], -v[8:9]
	v_fma_f64 v[124:125], v[14:15], v[124:125], v[10:11]
	v_fma_f64 v[10:11], v[16:17], -0.5, v[38:39]
	v_add_f64 v[16:17], v[128:129], -v[26:27]
	v_fma_f64 v[18:19], v[0:1], -0.5, v[40:41]
	v_add_f64 v[0:1], v[4:5], v[134:135]
	ds_read_b128 v[4:7], v49
	ds_read_b128 v[12:15], v48
	v_add_f64 v[2:3], v[2:3], v[26:27]
	v_add_f64 v[40:41], v[64:65], -v[130:131]
	v_add_f64 v[53:54], v[136:137], v[142:143]
	s_waitcnt lgkmcnt(1)
	v_fma_f64 v[26:27], v[20:21], -0.5, v[4:5]
	v_add_f64 v[20:21], v[6:7], v[66:67]
	v_add_f64 v[34:35], v[4:5], v[64:65]
	v_fma_f64 v[38:39], v[22:23], -0.5, v[6:7]
	v_fma_f64 v[8:9], v[16:17], s[4:5], v[10:11]
	v_fma_f64 v[4:5], v[16:17], s[6:7], v[10:11]
	;; [unrolled: 1-line block ×5, first 2 shown]
	v_add_f64 v[18:19], v[20:21], v[132:133]
	v_add_f64 v[16:17], v[34:35], v[130:131]
	v_fma_f64 v[20:21], v[36:37], s[4:5], v[26:27]
	v_fma_f64 v[22:23], v[40:41], s[6:7], v[38:39]
	;; [unrolled: 1-line block ×3, first 2 shown]
	ds_read_b128 v[34:37], v59
	ds_read_b128 v[38:41], v47
	;; [unrolled: 1-line block ×6, first 2 shown]
	s_waitcnt lgkmcnt(0)
	s_barrier
	ds_write_b128 v99, v[0:3]
	v_add_f64 v[0:1], v[140:141], v[144:145]
	ds_write_b128 v99, v[8:11] offset:21600
	ds_write_b128 v99, v[4:7] offset:43200
	v_fma_f64 v[6:7], v[53:54], -0.5, v[12:13]
	v_add_f64 v[2:3], v[14:15], v[140:141]
	v_add_f64 v[4:5], v[12:13], v[136:137]
	v_add_f64 v[8:9], v[140:141], -v[144:145]
	v_add_f64 v[12:13], v[136:137], -v[142:143]
	ds_write_b128 v49, v[16:19]
	v_fma_f64 v[10:11], v[0:1], -0.5, v[14:15]
	ds_write_b128 v49, v[20:23] offset:21600
	ds_write_b128 v49, v[24:27] offset:43200
	v_add_f64 v[14:15], v[138:139], v[148:149]
	v_add_f64 v[2:3], v[2:3], v[144:145]
	;; [unrolled: 1-line block ×3, first 2 shown]
	v_fma_f64 v[4:5], v[8:9], s[4:5], v[6:7]
	v_fma_f64 v[8:9], v[8:9], s[6:7], v[6:7]
	v_add_f64 v[16:17], v[36:37], v[146:147]
	v_fma_f64 v[6:7], v[12:13], s[6:7], v[10:11]
	v_fma_f64 v[10:11], v[12:13], s[4:5], v[10:11]
	v_add_f64 v[12:13], v[146:147], v[150:151]
	v_fma_f64 v[14:15], v[14:15], -0.5, v[34:35]
	ds_write_b128 v48, v[0:3]
	ds_write_b128 v48, v[4:7] offset:21600
	ds_write_b128 v48, v[8:11] offset:43200
	v_add_f64 v[6:7], v[152:153], v[156:157]
	v_add_f64 v[0:1], v[34:35], v[138:139]
	v_add_f64 v[18:19], v[146:147], -v[150:151]
	v_add_f64 v[2:3], v[16:17], v[150:151]
	v_add_f64 v[16:17], v[154:155], v[158:159]
	;; [unrolled: 1-line block ×3, first 2 shown]
	v_add_f64 v[24:25], v[154:155], -v[158:159]
	v_add_f64 v[34:35], v[74:75], v[78:79]
	v_fma_f64 v[22:23], v[6:7], -0.5, v[38:39]
	v_fma_f64 v[10:11], v[12:13], -0.5, v[36:37]
	v_add_f64 v[12:13], v[138:139], -v[148:149]
	v_fma_f64 v[4:5], v[18:19], s[4:5], v[14:15]
	v_fma_f64 v[8:9], v[18:19], s[6:7], v[14:15]
	v_add_f64 v[18:19], v[38:39], v[152:153]
	v_fma_f64 v[26:27], v[16:17], -0.5, v[40:41]
	v_add_f64 v[14:15], v[20:21], v[158:159]
	v_add_f64 v[36:37], v[152:153], -v[156:157]
	v_fma_f64 v[16:17], v[24:25], s[4:5], v[22:23]
	v_add_f64 v[38:39], v[72:73], v[76:77]
	v_add_f64 v[40:41], v[44:45], v[72:73]
	v_fma_f64 v[20:21], v[24:25], s[6:7], v[22:23]
	v_add_f64 v[24:25], v[42:43], v[74:75]
	v_fma_f64 v[42:43], v[34:35], -0.5, v[42:43]
	v_add_f64 v[48:49], v[72:73], -v[76:77]
	v_fma_f64 v[6:7], v[12:13], s[6:7], v[10:11]
	v_fma_f64 v[10:11], v[12:13], s[4:5], v[10:11]
	v_add_f64 v[12:13], v[18:19], v[156:157]
	v_fma_f64 v[18:19], v[36:37], s[6:7], v[26:27]
	v_fma_f64 v[22:23], v[36:37], s[4:5], v[26:27]
	v_fma_f64 v[44:45], v[38:39], -0.5, v[44:45]
	v_add_f64 v[26:27], v[40:41], v[76:77]
	v_add_f64 v[36:37], v[82:83], v[102:103]
	v_add_f64 v[40:41], v[74:75], -v[78:79]
	v_fma_f64 v[34:35], v[48:49], s[4:5], v[42:43]
	v_add_f64 v[53:54], v[80:81], v[100:101]
	v_fma_f64 v[38:39], v[48:49], s[6:7], v[42:43]
	v_add_f64 v[48:49], v[30:31], v[82:83]
	v_add_f64 v[42:43], v[32:33], v[80:81]
	v_add_f64 v[74:75], v[80:81], -v[100:101]
	v_fma_f64 v[72:73], v[36:37], -0.5, v[30:31]
	v_fma_f64 v[36:37], v[40:41], s[6:7], v[44:45]
	v_fma_f64 v[40:41], v[40:41], s[4:5], v[44:45]
	v_fma_f64 v[53:54], v[53:54], -0.5, v[32:33]
	v_add_f64 v[44:45], v[106:107], v[110:111]
	v_add_f64 v[30:31], v[48:49], v[102:103]
	v_add_f64 v[48:49], v[82:83], -v[102:103]
	v_add_f64 v[76:77], v[104:105], v[108:109]
	v_add_f64 v[24:25], v[24:25], v[78:79]
	v_add_f64 v[32:33], v[42:43], v[100:101]
	v_fma_f64 v[42:43], v[74:75], s[4:5], v[72:73]
	v_fma_f64 v[72:73], v[74:75], s[6:7], v[72:73]
	v_add_f64 v[78:79], v[62:63], v[104:105]
	v_fma_f64 v[80:81], v[44:45], -0.5, v[60:61]
	v_add_f64 v[60:61], v[60:61], v[106:107]
	v_add_f64 v[82:83], v[104:105], -v[108:109]
	v_fma_f64 v[44:45], v[48:49], s[6:7], v[53:54]
	v_fma_f64 v[74:75], v[48:49], s[4:5], v[53:54]
	v_fma_f64 v[48:49], v[76:77], -0.5, v[62:63]
	v_add_f64 v[53:54], v[106:107], -v[110:111]
	v_add_f64 v[62:63], v[78:79], v[108:109]
	v_add_f64 v[100:101], v[114:115], v[118:119]
	;; [unrolled: 1-line block ×3, first 2 shown]
	v_fma_f64 v[76:77], v[82:83], s[4:5], v[80:81]
	v_fma_f64 v[80:81], v[82:83], s[6:7], v[80:81]
	v_add_f64 v[102:103], v[112:113], v[116:117]
	v_add_f64 v[104:105], v[66:67], v[112:113]
	v_fma_f64 v[78:79], v[53:54], s[6:7], v[48:49]
	v_add_f64 v[106:107], v[64:65], v[114:115]
	v_add_f64 v[110:111], v[112:113], -v[116:117]
	v_add_f64 v[112:113], v[122:123], v[126:127]
	v_fma_f64 v[82:83], v[53:54], s[4:5], v[48:49]
	v_add_f64 v[53:54], v[120:121], v[124:125]
	v_add_f64 v[0:1], v[0:1], v[148:149]
	v_fma_f64 v[108:109], v[100:101], -0.5, v[64:65]
	v_fma_f64 v[48:49], v[102:103], -0.5, v[66:67]
	v_add_f64 v[66:67], v[104:105], v[116:117]
	v_add_f64 v[64:65], v[106:107], v[118:119]
	v_add_f64 v[104:105], v[114:115], -v[118:119]
	v_fma_f64 v[112:113], v[112:113], -0.5, v[68:69]
	v_add_f64 v[106:107], v[70:71], v[120:121]
	v_add_f64 v[114:115], v[68:69], v[122:123]
	v_add_f64 v[116:117], v[120:121], -v[124:125]
	v_fma_f64 v[53:54], v[53:54], -0.5, v[70:71]
	v_add_f64 v[118:119], v[122:123], -v[126:127]
	v_fma_f64 v[100:101], v[110:111], s[4:5], v[108:109]
	v_fma_f64 v[68:69], v[110:111], s[6:7], v[108:109]
	;; [unrolled: 1-line block ×4, first 2 shown]
	v_add_f64 v[106:107], v[106:107], v[124:125]
	v_add_f64 v[104:105], v[114:115], v[126:127]
	v_fma_f64 v[108:109], v[116:117], s[4:5], v[112:113]
	v_fma_f64 v[112:113], v[116:117], s[6:7], v[112:113]
	;; [unrolled: 1-line block ×4, first 2 shown]
	ds_write_b128 v59, v[0:3]
	ds_write_b128 v59, v[4:7] offset:21600
	ds_write_b128 v59, v[8:11] offset:43200
	ds_write_b128 v47, v[12:15]
	ds_write_b128 v47, v[16:19] offset:21600
	ds_write_b128 v47, v[20:23] offset:43200
	;; [unrolled: 3-line block ×7, first 2 shown]
	s_waitcnt lgkmcnt(0)
	s_barrier
	ds_read_b128 v[4:7], v99
	s_add_u32 s6, s8, 0xfc80
	s_addc_u32 s7, s9, 0
	v_sub_u32_e32 v10, 0, v85
                                        ; implicit-def: $vgpr8_vgpr9
                                        ; implicit-def: $vgpr2_vgpr3
	s_and_saveexec_b64 s[4:5], vcc
	s_xor_b64 s[4:5], exec, s[4:5]
	s_cbranch_execz .LBB0_15
; %bb.14:
	v_mov_b32_e32 v85, v29
	v_lshlrev_b64 v[0:1], 4, v[84:85]
	v_mov_b32_e32 v2, s7
	v_add_co_u32_e32 v0, vcc, s6, v0
	v_addc_co_u32_e32 v1, vcc, v2, v1, vcc
	global_load_dwordx4 v[11:14], v[0:1], off
	ds_read_b128 v[0:3], v10 offset:64800
	s_waitcnt lgkmcnt(0)
	v_add_f64 v[8:9], v[4:5], -v[0:1]
	v_add_f64 v[15:16], v[6:7], v[2:3]
	v_add_f64 v[2:3], v[6:7], -v[2:3]
	v_add_f64 v[0:1], v[4:5], v[0:1]
	v_mul_f64 v[6:7], v[8:9], 0.5
	v_mul_f64 v[4:5], v[15:16], 0.5
	;; [unrolled: 1-line block ×3, first 2 shown]
	s_waitcnt vmcnt(0)
	v_mul_f64 v[8:9], v[6:7], v[13:14]
	v_fma_f64 v[15:16], v[4:5], v[13:14], v[2:3]
	v_fma_f64 v[2:3], v[4:5], v[13:14], -v[2:3]
	v_fma_f64 v[17:18], v[0:1], 0.5, v[8:9]
	v_fma_f64 v[0:1], v[0:1], 0.5, -v[8:9]
	v_fma_f64 v[8:9], -v[11:12], v[6:7], v[15:16]
	v_fma_f64 v[2:3], -v[11:12], v[6:7], v[2:3]
	v_fma_f64 v[13:14], v[4:5], v[11:12], v[17:18]
	v_fma_f64 v[0:1], -v[4:5], v[11:12], v[0:1]
                                        ; implicit-def: $vgpr4_vgpr5
	ds_write_b64 v99, v[13:14]
.LBB0_15:
	s_or_saveexec_b64 s[4:5], s[4:5]
	v_mul_i32_i24_e32 v12, 0xffffff70, v88
	v_mul_i32_i24_e32 v11, 0xffffff70, v97
	s_xor_b64 exec, exec, s[4:5]
	s_cbranch_execz .LBB0_17
; %bb.16:
	s_waitcnt lgkmcnt(0)
	v_add_f64 v[2:3], v[4:5], v[6:7]
	v_mov_b32_e32 v15, 0
	ds_read_b64 v[13:14], v15 offset:32408
	v_add_f64 v[0:1], v[4:5], -v[6:7]
	v_mov_b32_e32 v8, 0
	v_mov_b32_e32 v9, 0
	s_waitcnt lgkmcnt(0)
	v_xor_b32_e32 v14, 0x80000000, v14
	ds_write_b64 v15, v[13:14] offset:32408
	ds_write_b64 v99, v[2:3]
	v_mov_b32_e32 v2, v8
	v_mov_b32_e32 v3, v9
.LBB0_17:
	s_or_b64 exec, exec, s[4:5]
	v_mov_b32_e32 v89, 0
	s_waitcnt lgkmcnt(0)
	v_lshlrev_b64 v[4:5], 4, v[88:89]
	v_mov_b32_e32 v6, s7
	v_add_co_u32_e32 v4, vcc, s6, v4
	v_addc_co_u32_e32 v5, vcc, v6, v5, vcc
	global_load_dwordx4 v[4:7], v[4:5], off
	v_mov_b32_e32 v98, v89
	v_lshlrev_b64 v[13:14], 4, v[97:98]
	v_mov_b32_e32 v15, s7
	v_add_co_u32_e32 v13, vcc, s6, v13
	v_addc_co_u32_e32 v14, vcc, v15, v14, vcc
	global_load_dwordx4 v[13:16], v[13:14], off
	ds_write_b64 v99, v[8:9] offset:8
	ds_write_b128 v10, v[0:3] offset:64800
	v_add_u32_e32 v12, v57, v12
	ds_read_b128 v[0:3], v12
	ds_read_b128 v[17:20], v10 offset:62640
	v_mov_b32_e32 v97, v89
	v_mov_b32_e32 v29, s7
	v_add_u32_e32 v88, 0x546, v84
	s_waitcnt lgkmcnt(0)
	v_add_f64 v[8:9], v[0:1], -v[17:18]
	v_add_f64 v[21:22], v[2:3], v[19:20]
	v_add_f64 v[2:3], v[2:3], -v[19:20]
	v_add_f64 v[0:1], v[0:1], v[17:18]
	v_lshlrev_b64 v[17:18], 4, v[96:97]
	v_mov_b32_e32 v96, v89
	v_mul_f64 v[19:20], v[8:9], 0.5
	v_mul_f64 v[21:22], v[21:22], 0.5
	;; [unrolled: 1-line block ×3, first 2 shown]
	s_waitcnt vmcnt(1)
	v_mul_f64 v[8:9], v[19:20], v[6:7]
	v_fma_f64 v[23:24], v[21:22], v[6:7], v[2:3]
	v_fma_f64 v[6:7], v[21:22], v[6:7], -v[2:3]
	v_fma_f64 v[25:26], v[0:1], 0.5, v[8:9]
	v_fma_f64 v[27:28], v[0:1], 0.5, -v[8:9]
	v_add_co_u32_e32 v0, vcc, s6, v17
	v_addc_co_u32_e32 v1, vcc, v29, v18, vcc
	global_load_dwordx4 v[0:3], v[0:1], off
	v_fma_f64 v[8:9], -v[4:5], v[19:20], v[23:24]
	v_fma_f64 v[19:20], -v[4:5], v[19:20], v[6:7]
	v_fma_f64 v[6:7], v[21:22], v[4:5], v[25:26]
	v_fma_f64 v[17:18], -v[21:22], v[4:5], v[27:28]
	v_add_u32_e32 v27, v56, v11
	v_mov_b32_e32 v28, s7
	ds_write_b128 v12, v[6:9]
	ds_write_b128 v10, v[17:20] offset:62640
	ds_read_b128 v[4:7], v27
	ds_read_b128 v[17:20], v10 offset:60480
	s_waitcnt lgkmcnt(0)
	v_add_f64 v[8:9], v[4:5], -v[17:18]
	v_add_f64 v[11:12], v[6:7], v[19:20]
	v_add_f64 v[6:7], v[6:7], -v[19:20]
	v_add_f64 v[4:5], v[4:5], v[17:18]
	v_lshlrev_b64 v[19:20], 4, v[95:96]
	v_mov_b32_e32 v95, v89
	v_mul_f64 v[8:9], v[8:9], 0.5
	v_mul_f64 v[11:12], v[11:12], 0.5
	;; [unrolled: 1-line block ×3, first 2 shown]
	s_waitcnt vmcnt(1)
	v_mul_f64 v[17:18], v[8:9], v[15:16]
	v_fma_f64 v[21:22], v[11:12], v[15:16], v[6:7]
	v_fma_f64 v[15:16], v[11:12], v[15:16], -v[6:7]
	v_fma_f64 v[23:24], v[4:5], 0.5, v[17:18]
	v_fma_f64 v[25:26], v[4:5], 0.5, -v[17:18]
	v_add_co_u32_e32 v4, vcc, s6, v19
	v_addc_co_u32_e32 v5, vcc, v28, v20, vcc
	global_load_dwordx4 v[4:7], v[4:5], off
	v_fma_f64 v[17:18], -v[13:14], v[8:9], v[21:22]
	v_fma_f64 v[21:22], -v[13:14], v[8:9], v[15:16]
	v_fma_f64 v[15:16], v[11:12], v[13:14], v[23:24]
	v_fma_f64 v[19:20], -v[11:12], v[13:14], v[25:26]
	ds_write_b128 v27, v[15:18]
	ds_write_b128 v10, v[19:22] offset:60480
	ds_read_b128 v[11:14], v59
	ds_read_b128 v[15:18], v10 offset:58320
	v_mov_b32_e32 v27, s7
	s_waitcnt lgkmcnt(0)
	v_add_f64 v[8:9], v[11:12], -v[15:16]
	v_add_f64 v[19:20], v[13:14], v[17:18]
	v_add_f64 v[13:14], v[13:14], -v[17:18]
	v_add_f64 v[11:12], v[11:12], v[15:16]
	v_lshlrev_b64 v[17:18], 4, v[94:95]
	v_mov_b32_e32 v94, v89
	v_mul_f64 v[8:9], v[8:9], 0.5
	v_mul_f64 v[19:20], v[19:20], 0.5
	;; [unrolled: 1-line block ×3, first 2 shown]
	s_waitcnt vmcnt(1)
	v_mul_f64 v[15:16], v[8:9], v[2:3]
	v_fma_f64 v[21:22], v[19:20], v[2:3], v[13:14]
	v_fma_f64 v[2:3], v[19:20], v[2:3], -v[13:14]
	v_fma_f64 v[23:24], v[11:12], 0.5, v[15:16]
	v_fma_f64 v[25:26], v[11:12], 0.5, -v[15:16]
	v_add_co_u32_e32 v11, vcc, s6, v17
	v_addc_co_u32_e32 v12, vcc, v27, v18, vcc
	global_load_dwordx4 v[11:14], v[11:12], off
	v_fma_f64 v[17:18], -v[0:1], v[8:9], v[21:22]
	v_fma_f64 v[15:16], v[19:20], v[0:1], v[23:24]
	v_fma_f64 v[2:3], -v[0:1], v[8:9], v[2:3]
	v_fma_f64 v[0:1], -v[19:20], v[0:1], v[25:26]
	ds_write_b128 v59, v[15:18]
	ds_write_b128 v10, v[0:3] offset:58320
	ds_read_b128 v[0:3], v47
	ds_read_b128 v[15:18], v10 offset:56160
	s_waitcnt lgkmcnt(0)
	v_add_f64 v[8:9], v[0:1], -v[15:16]
	v_add_f64 v[19:20], v[2:3], v[17:18]
	v_add_f64 v[2:3], v[2:3], -v[17:18]
	v_add_f64 v[0:1], v[0:1], v[15:16]
	v_lshlrev_b64 v[15:16], 4, v[93:94]
	v_mov_b32_e32 v93, v89
	v_mul_f64 v[17:18], v[8:9], 0.5
	v_mul_f64 v[19:20], v[19:20], 0.5
	;; [unrolled: 1-line block ×3, first 2 shown]
	s_waitcnt vmcnt(1)
	v_mul_f64 v[8:9], v[17:18], v[6:7]
	v_fma_f64 v[21:22], v[19:20], v[6:7], v[2:3]
	v_fma_f64 v[6:7], v[19:20], v[6:7], -v[2:3]
	v_fma_f64 v[23:24], v[0:1], 0.5, v[8:9]
	v_fma_f64 v[25:26], v[0:1], 0.5, -v[8:9]
	v_add_co_u32_e32 v0, vcc, s6, v15
	v_addc_co_u32_e32 v1, vcc, v27, v16, vcc
	global_load_dwordx4 v[0:3], v[0:1], off
	v_fma_f64 v[8:9], -v[4:5], v[17:18], v[21:22]
	v_fma_f64 v[17:18], -v[4:5], v[17:18], v[6:7]
	v_fma_f64 v[6:7], v[19:20], v[4:5], v[23:24]
	v_fma_f64 v[15:16], -v[19:20], v[4:5], v[25:26]
	ds_write_b128 v47, v[6:9]
	ds_write_b128 v10, v[15:18] offset:56160
	ds_read_b128 v[4:7], v46
	ds_read_b128 v[15:18], v10 offset:54000
	s_waitcnt lgkmcnt(0)
	v_add_f64 v[8:9], v[4:5], -v[15:16]
	v_add_f64 v[19:20], v[6:7], v[17:18]
	v_add_f64 v[6:7], v[6:7], -v[17:18]
	v_add_f64 v[4:5], v[4:5], v[15:16]
	v_mul_f64 v[8:9], v[8:9], 0.5
	v_mul_f64 v[17:18], v[19:20], 0.5
	;; [unrolled: 1-line block ×3, first 2 shown]
	v_lshlrev_b64 v[19:20], 4, v[92:93]
	v_mov_b32_e32 v92, v89
	s_waitcnt vmcnt(1)
	v_mul_f64 v[15:16], v[8:9], v[13:14]
	v_fma_f64 v[21:22], v[17:18], v[13:14], v[6:7]
	v_fma_f64 v[13:14], v[17:18], v[13:14], -v[6:7]
	v_fma_f64 v[23:24], v[4:5], 0.5, v[15:16]
	v_fma_f64 v[25:26], v[4:5], 0.5, -v[15:16]
	v_add_co_u32_e32 v4, vcc, s6, v19
	v_addc_co_u32_e32 v5, vcc, v27, v20, vcc
	global_load_dwordx4 v[4:7], v[4:5], off
	v_fma_f64 v[15:16], -v[11:12], v[8:9], v[21:22]
	v_fma_f64 v[19:20], -v[11:12], v[8:9], v[13:14]
	v_fma_f64 v[13:14], v[17:18], v[11:12], v[23:24]
	v_fma_f64 v[17:18], -v[17:18], v[11:12], v[25:26]
	ds_write_b128 v46, v[13:16]
	ds_write_b128 v10, v[17:20] offset:54000
	ds_read_b128 v[11:14], v58
	ds_read_b128 v[15:18], v10 offset:51840
	s_waitcnt lgkmcnt(0)
	v_add_f64 v[8:9], v[11:12], -v[15:16]
	v_add_f64 v[19:20], v[13:14], v[17:18]
	v_add_f64 v[13:14], v[13:14], -v[17:18]
	v_add_f64 v[11:12], v[11:12], v[15:16]
	v_lshlrev_b64 v[17:18], 4, v[91:92]
	v_mov_b32_e32 v91, v89
	v_mul_f64 v[8:9], v[8:9], 0.5
	v_mul_f64 v[19:20], v[19:20], 0.5
	;; [unrolled: 1-line block ×3, first 2 shown]
	s_waitcnt vmcnt(1)
	v_mul_f64 v[15:16], v[8:9], v[2:3]
	v_fma_f64 v[21:22], v[19:20], v[2:3], v[13:14]
	v_fma_f64 v[2:3], v[19:20], v[2:3], -v[13:14]
	v_fma_f64 v[23:24], v[11:12], 0.5, v[15:16]
	v_fma_f64 v[25:26], v[11:12], 0.5, -v[15:16]
	v_add_co_u32_e32 v11, vcc, s6, v17
	v_addc_co_u32_e32 v12, vcc, v27, v18, vcc
	global_load_dwordx4 v[11:14], v[11:12], off
	v_fma_f64 v[17:18], -v[0:1], v[8:9], v[21:22]
	v_fma_f64 v[15:16], v[19:20], v[0:1], v[23:24]
	v_fma_f64 v[2:3], -v[0:1], v[8:9], v[2:3]
	v_fma_f64 v[0:1], -v[19:20], v[0:1], v[25:26]
	ds_write_b128 v58, v[15:18]
	ds_write_b128 v10, v[0:3] offset:51840
	ds_read_b128 v[0:3], v52
	ds_read_b128 v[15:18], v10 offset:49680
	s_waitcnt lgkmcnt(0)
	v_add_f64 v[8:9], v[0:1], -v[15:16]
	v_add_f64 v[19:20], v[2:3], v[17:18]
	v_add_f64 v[2:3], v[2:3], -v[17:18]
	v_add_f64 v[0:1], v[0:1], v[15:16]
	v_lshlrev_b64 v[15:16], 4, v[90:91]
	v_mul_f64 v[17:18], v[8:9], 0.5
	v_mul_f64 v[19:20], v[19:20], 0.5
	;; [unrolled: 1-line block ×3, first 2 shown]
	s_waitcnt vmcnt(1)
	v_mul_f64 v[8:9], v[17:18], v[6:7]
	v_fma_f64 v[21:22], v[19:20], v[6:7], v[2:3]
	v_fma_f64 v[6:7], v[19:20], v[6:7], -v[2:3]
	v_fma_f64 v[23:24], v[0:1], 0.5, v[8:9]
	v_fma_f64 v[25:26], v[0:1], 0.5, -v[8:9]
	v_add_co_u32_e32 v0, vcc, s6, v15
	v_addc_co_u32_e32 v1, vcc, v27, v16, vcc
	global_load_dwordx4 v[0:3], v[0:1], off
	v_fma_f64 v[8:9], -v[4:5], v[17:18], v[21:22]
	v_fma_f64 v[17:18], -v[4:5], v[17:18], v[6:7]
	v_fma_f64 v[6:7], v[19:20], v[4:5], v[23:24]
	v_fma_f64 v[15:16], -v[19:20], v[4:5], v[25:26]
	ds_write_b128 v52, v[6:9]
	ds_write_b128 v10, v[15:18] offset:49680
	ds_read_b128 v[4:7], v51
	ds_read_b128 v[15:18], v10 offset:47520
	s_waitcnt lgkmcnt(0)
	v_add_f64 v[8:9], v[4:5], -v[15:16]
	v_add_f64 v[19:20], v[6:7], v[17:18]
	v_add_f64 v[6:7], v[6:7], -v[17:18]
	v_add_f64 v[4:5], v[4:5], v[15:16]
	v_mul_f64 v[8:9], v[8:9], 0.5
	v_mul_f64 v[17:18], v[19:20], 0.5
	;; [unrolled: 1-line block ×3, first 2 shown]
	v_lshlrev_b64 v[19:20], 4, v[88:89]
	v_add_u32_e32 v88, 0x5cd, v84
	s_waitcnt vmcnt(1)
	v_mul_f64 v[15:16], v[8:9], v[13:14]
	v_fma_f64 v[21:22], v[17:18], v[13:14], v[6:7]
	v_fma_f64 v[13:14], v[17:18], v[13:14], -v[6:7]
	v_fma_f64 v[23:24], v[4:5], 0.5, v[15:16]
	v_fma_f64 v[25:26], v[4:5], 0.5, -v[15:16]
	v_add_co_u32_e32 v4, vcc, s6, v19
	v_addc_co_u32_e32 v5, vcc, v27, v20, vcc
	global_load_dwordx4 v[4:7], v[4:5], off
	v_fma_f64 v[15:16], -v[11:12], v[8:9], v[21:22]
	v_fma_f64 v[19:20], -v[11:12], v[8:9], v[13:14]
	v_fma_f64 v[13:14], v[17:18], v[11:12], v[23:24]
	v_fma_f64 v[17:18], -v[17:18], v[11:12], v[25:26]
	ds_write_b128 v51, v[13:16]
	ds_write_b128 v10, v[17:20] offset:47520
	ds_read_b128 v[11:14], v50
	ds_read_b128 v[15:18], v10 offset:45360
	s_waitcnt lgkmcnt(0)
	v_add_f64 v[8:9], v[11:12], -v[15:16]
	v_add_f64 v[19:20], v[13:14], v[17:18]
	v_add_f64 v[13:14], v[13:14], -v[17:18]
	v_add_f64 v[11:12], v[11:12], v[15:16]
	v_lshlrev_b64 v[17:18], 4, v[88:89]
	v_add_u32_e32 v88, 0x654, v84
	v_mul_f64 v[8:9], v[8:9], 0.5
	v_mul_f64 v[19:20], v[19:20], 0.5
	;; [unrolled: 1-line block ×3, first 2 shown]
	s_waitcnt vmcnt(1)
	v_mul_f64 v[15:16], v[8:9], v[2:3]
	v_fma_f64 v[21:22], v[19:20], v[2:3], v[13:14]
	v_fma_f64 v[2:3], v[19:20], v[2:3], -v[13:14]
	v_fma_f64 v[23:24], v[11:12], 0.5, v[15:16]
	v_fma_f64 v[25:26], v[11:12], 0.5, -v[15:16]
	v_add_co_u32_e32 v11, vcc, s6, v17
	v_addc_co_u32_e32 v12, vcc, v27, v18, vcc
	global_load_dwordx4 v[11:14], v[11:12], off
	v_fma_f64 v[17:18], -v[0:1], v[8:9], v[21:22]
	v_fma_f64 v[15:16], v[19:20], v[0:1], v[23:24]
	v_fma_f64 v[2:3], -v[0:1], v[8:9], v[2:3]
	v_fma_f64 v[0:1], -v[19:20], v[0:1], v[25:26]
	ds_write_b128 v50, v[15:18]
	ds_write_b128 v10, v[0:3] offset:45360
	ds_read_b128 v[0:3], v99 offset:21600
	ds_read_b128 v[15:18], v10 offset:43200
	s_waitcnt lgkmcnt(0)
	v_add_f64 v[8:9], v[0:1], -v[15:16]
	v_add_f64 v[19:20], v[2:3], v[17:18]
	v_add_f64 v[2:3], v[2:3], -v[17:18]
	v_add_f64 v[0:1], v[0:1], v[15:16]
	v_lshlrev_b64 v[15:16], 4, v[88:89]
	v_add_u32_e32 v88, 0x6db, v84
	v_mul_f64 v[17:18], v[8:9], 0.5
	v_mul_f64 v[19:20], v[19:20], 0.5
	v_mul_f64 v[2:3], v[2:3], 0.5
	s_waitcnt vmcnt(1)
	v_mul_f64 v[8:9], v[17:18], v[6:7]
	v_fma_f64 v[21:22], v[19:20], v[6:7], v[2:3]
	v_fma_f64 v[6:7], v[19:20], v[6:7], -v[2:3]
	v_fma_f64 v[23:24], v[0:1], 0.5, v[8:9]
	v_fma_f64 v[25:26], v[0:1], 0.5, -v[8:9]
	v_add_co_u32_e32 v0, vcc, s6, v15
	v_addc_co_u32_e32 v1, vcc, v27, v16, vcc
	global_load_dwordx4 v[0:3], v[0:1], off
	v_fma_f64 v[8:9], -v[4:5], v[17:18], v[21:22]
	v_fma_f64 v[17:18], -v[4:5], v[17:18], v[6:7]
	v_fma_f64 v[6:7], v[19:20], v[4:5], v[23:24]
	v_fma_f64 v[15:16], -v[19:20], v[4:5], v[25:26]
	ds_write_b128 v99, v[6:9] offset:21600
	ds_write_b128 v10, v[15:18] offset:43200
	ds_read_b128 v[4:7], v99 offset:23760
	ds_read_b128 v[15:18], v10 offset:41040
	s_waitcnt lgkmcnt(0)
	v_add_f64 v[8:9], v[4:5], -v[15:16]
	v_add_f64 v[19:20], v[6:7], v[17:18]
	v_add_f64 v[6:7], v[6:7], -v[17:18]
	v_add_f64 v[4:5], v[4:5], v[15:16]
	v_mul_f64 v[8:9], v[8:9], 0.5
	v_mul_f64 v[17:18], v[19:20], 0.5
	;; [unrolled: 1-line block ×3, first 2 shown]
	v_lshlrev_b64 v[19:20], 4, v[88:89]
	v_add_u32_e32 v88, 0x762, v84
	s_waitcnt vmcnt(1)
	v_mul_f64 v[15:16], v[8:9], v[13:14]
	v_fma_f64 v[21:22], v[17:18], v[13:14], v[6:7]
	v_fma_f64 v[13:14], v[17:18], v[13:14], -v[6:7]
	v_fma_f64 v[23:24], v[4:5], 0.5, v[15:16]
	v_fma_f64 v[25:26], v[4:5], 0.5, -v[15:16]
	v_add_co_u32_e32 v4, vcc, s6, v19
	v_addc_co_u32_e32 v5, vcc, v27, v20, vcc
	global_load_dwordx4 v[4:7], v[4:5], off
	v_fma_f64 v[15:16], -v[11:12], v[8:9], v[21:22]
	v_fma_f64 v[19:20], -v[11:12], v[8:9], v[13:14]
	v_fma_f64 v[13:14], v[17:18], v[11:12], v[23:24]
	v_fma_f64 v[17:18], -v[17:18], v[11:12], v[25:26]
	ds_write_b128 v99, v[13:16] offset:23760
	ds_write_b128 v10, v[17:20] offset:41040
	ds_read_b128 v[11:14], v99 offset:25920
	ds_read_b128 v[15:18], v10 offset:38880
	s_waitcnt lgkmcnt(0)
	v_add_f64 v[8:9], v[11:12], -v[15:16]
	v_add_f64 v[19:20], v[13:14], v[17:18]
	v_add_f64 v[13:14], v[13:14], -v[17:18]
	v_add_f64 v[11:12], v[11:12], v[15:16]
	v_lshlrev_b64 v[17:18], 4, v[88:89]
	v_mul_f64 v[8:9], v[8:9], 0.5
	v_mul_f64 v[19:20], v[19:20], 0.5
	;; [unrolled: 1-line block ×3, first 2 shown]
	s_waitcnt vmcnt(1)
	v_mul_f64 v[15:16], v[8:9], v[2:3]
	v_fma_f64 v[21:22], v[19:20], v[2:3], v[13:14]
	v_fma_f64 v[2:3], v[19:20], v[2:3], -v[13:14]
	v_fma_f64 v[23:24], v[11:12], 0.5, v[15:16]
	v_fma_f64 v[25:26], v[11:12], 0.5, -v[15:16]
	v_add_co_u32_e32 v11, vcc, s6, v17
	v_addc_co_u32_e32 v12, vcc, v27, v18, vcc
	global_load_dwordx4 v[11:14], v[11:12], off
	v_fma_f64 v[17:18], -v[0:1], v[8:9], v[21:22]
	v_fma_f64 v[15:16], v[19:20], v[0:1], v[23:24]
	v_fma_f64 v[2:3], -v[0:1], v[8:9], v[2:3]
	v_fma_f64 v[0:1], -v[19:20], v[0:1], v[25:26]
	ds_write_b128 v99, v[15:18] offset:25920
	ds_write_b128 v10, v[0:3] offset:38880
	ds_read_b128 v[0:3], v99 offset:28080
	ds_read_b128 v[15:18], v10 offset:36720
	s_waitcnt lgkmcnt(0)
	v_add_f64 v[8:9], v[0:1], -v[15:16]
	v_add_f64 v[19:20], v[2:3], v[17:18]
	v_add_f64 v[2:3], v[2:3], -v[17:18]
	v_add_f64 v[0:1], v[0:1], v[15:16]
	v_mul_f64 v[8:9], v[8:9], 0.5
	v_mul_f64 v[17:18], v[19:20], 0.5
	v_mul_f64 v[2:3], v[2:3], 0.5
	s_waitcnt vmcnt(1)
	v_mul_f64 v[15:16], v[8:9], v[6:7]
	v_fma_f64 v[19:20], v[17:18], v[6:7], v[2:3]
	v_fma_f64 v[6:7], v[17:18], v[6:7], -v[2:3]
	v_fma_f64 v[21:22], v[0:1], 0.5, v[15:16]
	v_fma_f64 v[15:16], v[0:1], 0.5, -v[15:16]
	v_fma_f64 v[2:3], -v[4:5], v[8:9], v[19:20]
	v_fma_f64 v[6:7], -v[4:5], v[8:9], v[6:7]
	v_fma_f64 v[0:1], v[17:18], v[4:5], v[21:22]
	v_fma_f64 v[4:5], -v[17:18], v[4:5], v[15:16]
	ds_write_b128 v99, v[0:3] offset:28080
	ds_write_b128 v10, v[4:7] offset:36720
	ds_read_b128 v[0:3], v99 offset:30240
	ds_read_b128 v[4:7], v10 offset:34560
	s_waitcnt lgkmcnt(0)
	v_add_f64 v[8:9], v[0:1], -v[4:5]
	v_add_f64 v[15:16], v[2:3], v[6:7]
	v_add_f64 v[2:3], v[2:3], -v[6:7]
	v_add_f64 v[0:1], v[0:1], v[4:5]
	v_mul_f64 v[6:7], v[8:9], 0.5
	v_mul_f64 v[8:9], v[15:16], 0.5
	;; [unrolled: 1-line block ×3, first 2 shown]
	s_waitcnt vmcnt(0)
	v_mul_f64 v[4:5], v[6:7], v[13:14]
	v_fma_f64 v[15:16], v[8:9], v[13:14], v[2:3]
	v_fma_f64 v[13:14], v[8:9], v[13:14], -v[2:3]
	v_fma_f64 v[17:18], v[0:1], 0.5, v[4:5]
	v_fma_f64 v[4:5], v[0:1], 0.5, -v[4:5]
	v_fma_f64 v[2:3], -v[11:12], v[6:7], v[15:16]
	v_fma_f64 v[6:7], -v[11:12], v[6:7], v[13:14]
	v_fma_f64 v[0:1], v[8:9], v[11:12], v[17:18]
	v_fma_f64 v[4:5], -v[8:9], v[11:12], v[4:5]
	ds_write_b128 v99, v[0:3] offset:30240
	ds_write_b128 v10, v[4:7] offset:34560
	s_waitcnt lgkmcnt(0)
	s_barrier
	s_and_saveexec_b64 s[4:5], s[0:1]
	s_cbranch_execz .LBB0_20
; %bb.18:
	v_mov_b32_e32 v85, v89
	ds_read_b128 v[2:5], v99
	ds_read_b128 v[6:9], v99 offset:2160
	v_mov_b32_e32 v0, s3
	v_add_co_u32_e32 v1, vcc, s2, v86
	v_lshlrev_b64 v[10:11], 4, v[84:85]
	v_addc_co_u32_e32 v0, vcc, v0, v87, vcc
	v_add_co_u32_e32 v10, vcc, v1, v10
	v_addc_co_u32_e32 v11, vcc, v0, v11, vcc
	s_waitcnt lgkmcnt(1)
	global_store_dwordx4 v[10:11], v[2:5], off
	s_waitcnt lgkmcnt(0)
	global_store_dwordx4 v[10:11], v[6:9], off offset:2160
	ds_read_b128 v[2:5], v99 offset:4320
	ds_read_b128 v[6:9], v99 offset:6480
	v_add_co_u32_e32 v12, vcc, 0x1000, v10
	v_addc_co_u32_e32 v13, vcc, 0, v11, vcc
	s_waitcnt lgkmcnt(1)
	global_store_dwordx4 v[12:13], v[2:5], off offset:224
	s_waitcnt lgkmcnt(0)
	global_store_dwordx4 v[12:13], v[6:9], off offset:2384
	ds_read_b128 v[2:5], v99 offset:8640
	ds_read_b128 v[6:9], v99 offset:10800
	v_add_co_u32_e32 v12, vcc, 0x2000, v10
	v_addc_co_u32_e32 v13, vcc, 0, v11, vcc
	s_waitcnt lgkmcnt(1)
	global_store_dwordx4 v[12:13], v[2:5], off offset:448
	;; [unrolled: 8-line block ×9, first 2 shown]
	ds_read_b128 v[2:5], v99 offset:43200
	v_add_co_u32_e32 v12, vcc, 0xa000, v10
	v_addc_co_u32_e32 v13, vcc, 0, v11, vcc
	s_waitcnt lgkmcnt(1)
	global_store_dwordx4 v[12:13], v[6:9], off offset:80
	ds_read_b128 v[6:9], v99 offset:45360
	s_waitcnt lgkmcnt(1)
	global_store_dwordx4 v[12:13], v[2:5], off offset:2240
	ds_read_b128 v[2:5], v99 offset:47520
	v_add_co_u32_e32 v12, vcc, 0xb000, v10
	v_addc_co_u32_e32 v13, vcc, 0, v11, vcc
	s_waitcnt lgkmcnt(1)
	global_store_dwordx4 v[12:13], v[6:9], off offset:304
	ds_read_b128 v[6:9], v99 offset:49680
	s_waitcnt lgkmcnt(1)
	global_store_dwordx4 v[12:13], v[2:5], off offset:2464
	;; [unrolled: 8-line block ×5, first 2 shown]
	s_movk_i32 s0, 0x86
	v_add_co_u32_e32 v2, vcc, 0xf000, v10
	v_addc_co_u32_e32 v3, vcc, 0, v11, vcc
	v_cmp_eq_u32_e32 vcc, s0, v84
	s_waitcnt lgkmcnt(0)
	global_store_dwordx4 v[2:3], v[6:9], off offset:1200
	s_and_b64 exec, exec, vcc
	s_cbranch_execz .LBB0_20
; %bb.19:
	v_mov_b32_e32 v2, 0
	ds_read_b128 v[2:5], v2 offset:64800
	v_add_co_u32_e32 v6, vcc, 0xf000, v1
	v_addc_co_u32_e32 v7, vcc, 0, v0, vcc
	s_waitcnt lgkmcnt(0)
	global_store_dwordx4 v[6:7], v[2:5], off offset:3360
.LBB0_20:
	s_endpgm
	.section	.rodata,"a",@progbits
	.p2align	6, 0x0
	.amdhsa_kernel fft_rtc_fwd_len4050_factors_10_5_3_3_3_3_wgs_135_tpt_135_halfLds_dp_ip_CI_unitstride_sbrr_R2C_dirReg
		.amdhsa_group_segment_fixed_size 0
		.amdhsa_private_segment_fixed_size 0
		.amdhsa_kernarg_size 88
		.amdhsa_user_sgpr_count 6
		.amdhsa_user_sgpr_private_segment_buffer 1
		.amdhsa_user_sgpr_dispatch_ptr 0
		.amdhsa_user_sgpr_queue_ptr 0
		.amdhsa_user_sgpr_kernarg_segment_ptr 1
		.amdhsa_user_sgpr_dispatch_id 0
		.amdhsa_user_sgpr_flat_scratch_init 0
		.amdhsa_user_sgpr_private_segment_size 0
		.amdhsa_uses_dynamic_stack 0
		.amdhsa_system_sgpr_private_segment_wavefront_offset 0
		.amdhsa_system_sgpr_workgroup_id_x 1
		.amdhsa_system_sgpr_workgroup_id_y 0
		.amdhsa_system_sgpr_workgroup_id_z 0
		.amdhsa_system_sgpr_workgroup_info 0
		.amdhsa_system_vgpr_workitem_id 0
		.amdhsa_next_free_vgpr 194
		.amdhsa_next_free_sgpr 22
		.amdhsa_reserve_vcc 1
		.amdhsa_reserve_flat_scratch 0
		.amdhsa_float_round_mode_32 0
		.amdhsa_float_round_mode_16_64 0
		.amdhsa_float_denorm_mode_32 3
		.amdhsa_float_denorm_mode_16_64 3
		.amdhsa_dx10_clamp 1
		.amdhsa_ieee_mode 1
		.amdhsa_fp16_overflow 0
		.amdhsa_exception_fp_ieee_invalid_op 0
		.amdhsa_exception_fp_denorm_src 0
		.amdhsa_exception_fp_ieee_div_zero 0
		.amdhsa_exception_fp_ieee_overflow 0
		.amdhsa_exception_fp_ieee_underflow 0
		.amdhsa_exception_fp_ieee_inexact 0
		.amdhsa_exception_int_div_zero 0
	.end_amdhsa_kernel
	.text
.Lfunc_end0:
	.size	fft_rtc_fwd_len4050_factors_10_5_3_3_3_3_wgs_135_tpt_135_halfLds_dp_ip_CI_unitstride_sbrr_R2C_dirReg, .Lfunc_end0-fft_rtc_fwd_len4050_factors_10_5_3_3_3_3_wgs_135_tpt_135_halfLds_dp_ip_CI_unitstride_sbrr_R2C_dirReg
                                        ; -- End function
	.section	.AMDGPU.csdata,"",@progbits
; Kernel info:
; codeLenInByte = 26824
; NumSgprs: 26
; NumVgprs: 194
; ScratchSize: 0
; MemoryBound: 0
; FloatMode: 240
; IeeeMode: 1
; LDSByteSize: 0 bytes/workgroup (compile time only)
; SGPRBlocks: 3
; VGPRBlocks: 48
; NumSGPRsForWavesPerEU: 26
; NumVGPRsForWavesPerEU: 194
; Occupancy: 1
; WaveLimiterHint : 1
; COMPUTE_PGM_RSRC2:SCRATCH_EN: 0
; COMPUTE_PGM_RSRC2:USER_SGPR: 6
; COMPUTE_PGM_RSRC2:TRAP_HANDLER: 0
; COMPUTE_PGM_RSRC2:TGID_X_EN: 1
; COMPUTE_PGM_RSRC2:TGID_Y_EN: 0
; COMPUTE_PGM_RSRC2:TGID_Z_EN: 0
; COMPUTE_PGM_RSRC2:TIDIG_COMP_CNT: 0
	.type	__hip_cuid_f26089dac6abb97b,@object ; @__hip_cuid_f26089dac6abb97b
	.section	.bss,"aw",@nobits
	.globl	__hip_cuid_f26089dac6abb97b
__hip_cuid_f26089dac6abb97b:
	.byte	0                               ; 0x0
	.size	__hip_cuid_f26089dac6abb97b, 1

	.ident	"AMD clang version 19.0.0git (https://github.com/RadeonOpenCompute/llvm-project roc-6.4.0 25133 c7fe45cf4b819c5991fe208aaa96edf142730f1d)"
	.section	".note.GNU-stack","",@progbits
	.addrsig
	.addrsig_sym __hip_cuid_f26089dac6abb97b
	.amdgpu_metadata
---
amdhsa.kernels:
  - .args:
      - .actual_access:  read_only
        .address_space:  global
        .offset:         0
        .size:           8
        .value_kind:     global_buffer
      - .offset:         8
        .size:           8
        .value_kind:     by_value
      - .actual_access:  read_only
        .address_space:  global
        .offset:         16
        .size:           8
        .value_kind:     global_buffer
      - .actual_access:  read_only
        .address_space:  global
        .offset:         24
        .size:           8
        .value_kind:     global_buffer
      - .offset:         32
        .size:           8
        .value_kind:     by_value
      - .actual_access:  read_only
        .address_space:  global
        .offset:         40
        .size:           8
        .value_kind:     global_buffer
      - .actual_access:  read_only
        .address_space:  global
        .offset:         48
        .size:           8
        .value_kind:     global_buffer
      - .offset:         56
        .size:           4
        .value_kind:     by_value
      - .actual_access:  read_only
        .address_space:  global
        .offset:         64
        .size:           8
        .value_kind:     global_buffer
      - .actual_access:  read_only
        .address_space:  global
        .offset:         72
        .size:           8
        .value_kind:     global_buffer
      - .address_space:  global
        .offset:         80
        .size:           8
        .value_kind:     global_buffer
    .group_segment_fixed_size: 0
    .kernarg_segment_align: 8
    .kernarg_segment_size: 88
    .language:       OpenCL C
    .language_version:
      - 2
      - 0
    .max_flat_workgroup_size: 135
    .name:           fft_rtc_fwd_len4050_factors_10_5_3_3_3_3_wgs_135_tpt_135_halfLds_dp_ip_CI_unitstride_sbrr_R2C_dirReg
    .private_segment_fixed_size: 0
    .sgpr_count:     26
    .sgpr_spill_count: 0
    .symbol:         fft_rtc_fwd_len4050_factors_10_5_3_3_3_3_wgs_135_tpt_135_halfLds_dp_ip_CI_unitstride_sbrr_R2C_dirReg.kd
    .uniform_work_group_size: 1
    .uses_dynamic_stack: false
    .vgpr_count:     194
    .vgpr_spill_count: 0
    .wavefront_size: 64
amdhsa.target:   amdgcn-amd-amdhsa--gfx906
amdhsa.version:
  - 1
  - 2
...

	.end_amdgpu_metadata
